;; amdgpu-corpus repo=ROCm/aiter kind=harvested arch=n/a opt=n/a

/root/src/amdgpu-assembly/repos/ROCm__aiter/hsa/gfx950/pa/pa_bf16_perblockFp8_blk1024_1tg_4w_qlen48_msk1_ps.co:	file format elf64-amdgpu

Disassembly of section .text:

0000000000002600 <_ZN5aiter45PA_A16W8_BLK1024_1TG_4W_48mx1_64nx4_MTP_PS_PBE>:
	s_and_b32 s1, s1, 0xffff                                   // 000000002600: 8601FF01 0000FFFF
	s_load_dwordx2 s[4:5], s[0:1], 0x0                         // 000000002608: C0060100 00000000
	s_load_dwordx2 s[8:9], s[0:1], 0x10                        // 000000002610: C0060200 00000010
	s_load_dwordx2 s[12:13], s[0:1], 0x20                      // 000000002618: C0060300 00000020
	s_load_dwordx2 s[16:17], s[0:1], 0x30                      // 000000002620: C0060400 00000030
	s_load_dwordx2 s[42:43], s[0:1], 0x40                      // 000000002628: C0060A80 00000040
	s_load_dwordx2 s[40:41], s[0:1], 0x50                      // 000000002630: C0060A00 00000050
	s_load_dwordx2 s[20:21], s[0:1], 0x60                      // 000000002638: C0060500 00000060
	s_load_dwordx2 s[24:25], s[0:1], 0x70                      // 000000002640: C0060600 00000070
	s_load_dword s46, s[0:1], 0x80                             // 000000002648: C0020B80 00000080
	s_load_dword s48, s[0:1], 0x90                             // 000000002650: C0020C00 00000090
	s_load_dword s49, s[0:1], 0xa0                             // 000000002658: C0020C40 000000A0
	s_load_dword s50, s[0:1], 0xb0                             // 000000002660: C0020C80 000000B0
	s_load_dword s51, s[0:1], 0xc0                             // 000000002668: C0020CC0 000000C0
	s_load_dword s52, s[0:1], 0xd0                             // 000000002670: C0020D00 000000D0
	s_load_dword s53, s[0:1], 0xe0                             // 000000002678: C0020D40 000000E0
	s_load_dwordx2 s[44:45], s[0:1], 0x100                     // 000000002680: C0060B00 00000100
	s_load_dwordx2 s[36:37], s[0:1], 0x110                     // 000000002688: C0060900 00000110
	s_load_dwordx2 s[38:39], s[0:1], 0x120                     // 000000002690: C0060980 00000120
	s_load_dwordx2 s[28:29], s[0:1], 0x130                     // 000000002698: C0060700 00000130
	s_load_dwordx2 s[32:33], s[0:1], 0x140                     // 0000000026A0: C0060800 00000140
	v_lshrrev_b32_e32 v1, 10, v0                               // 0000000026A8: 2002008A
	v_lshrrev_b32_e32 v2, 10, v1                               // 0000000026AC: 2004028A
	v_and_b32_e32 v2, 0x3ff, v2                                // 0000000026B0: 260404FF 000003FF
	v_and_b32_e32 v1, 0x3ff, v1                                // 0000000026B8: 260202FF 000003FF
	v_and_b32_e32 v0, 0x3ff, v0                                // 0000000026C0: 260000FF 000003FF
	v_lshrrev_b32_e32 v3, 6, v0                                // 0000000026C8: 20060086
	v_and_b32_e32 v0, 63, v0                                   // 0000000026CC: 260000BF
	s_mov_b32 s58, s2                                          // 0000000026D0: BEBA0002
	v_readfirstlane_b32 s57, v3                                // 0000000026D4: 7E720503
	s_mov_b32 s56, 0x7060302                                   // 0000000026D8: BEB800FF 07060302
	v_mov_b32_e32 v215, 0xffff0000                             // 0000000026E0: 7FAE02FF FFFF0000
	v_mov_b32_e32 v216, 0x7fff0000                             // 0000000026E8: 7FB002FF 7FFF0000
	v_mov_b32_e32 v217, 0x7fff                                 // 0000000026F0: 7FB202FF 00007FFF
	v_mov_b32_e32 v222, 0xff800000                             // 0000000026F8: 7FBC02FF FF800000
	v_lshrrev_b32_e32 v204, 4, v0                              // 000000002700: 21980084
	v_and_b32_e32 v205, 15, v0                                 // 000000002704: 279A008F
	v_add_u32_e32 v206, 1, v204                                // 000000002708: 699D9881
	v_and_b32_e32 v208, 3, v206                                // 00000000270C: 27A19C83
	v_lshlrev_b32_e32 v208, 4, v208                            // 000000002710: 25A1A084
	v_add_u32_e32 v208, v205, v208                             // 000000002714: 69A1A1CD
	v_lshlrev_b32_e32 v208, 2, v208                            // 000000002718: 25A1A082
	v_add_u32_e32 v206, 2, v204                                // 00000000271C: 699D9882
	v_and_b32_e32 v209, 3, v206                                // 000000002720: 27A39C83
	v_lshlrev_b32_e32 v209, 4, v209                            // 000000002724: 25A3A284
	v_add_u32_e32 v209, v205, v209                             // 000000002728: 69A3A3CD
	v_lshlrev_b32_e32 v209, 2, v209                            // 00000000272C: 25A3A282
	v_add_u32_e32 v206, 3, v204                                // 000000002730: 699D9883
	v_and_b32_e32 v210, 3, v206                                // 000000002734: 27A59C83
	v_lshlrev_b32_e32 v210, 4, v210                            // 000000002738: 25A5A484
	v_add_u32_e32 v210, v205, v210                             // 00000000273C: 69A5A5CD
	v_lshlrev_b32_e32 v210, 2, v210                            // 000000002740: 25A5A482
	s_waitcnt lgkmcnt(0)                                       // 000000002744: BF8CC07F
	s_lshl_b32 s54, s58, 2                                     // 000000002748: 8E36823A
	s_and_b32 s37, s37, 0xffff                                 // 00000000274C: 8625FF25 0000FFFF
	s_load_dwordx2 s[80:81], s[36:37], s54                     // 000000002754: C0041412 00000036
	s_mul_i32 s54, s53, 0x100                                  // 00000000275C: 9236FF35 00000100
	s_mul_i32 s67, s48, s54                                    // 000000002764: 92433630
	s_mul_i32 s66, s48, 4                                      // 000000002768: 92428430
	s_mov_b32 s47, s46                                         // 00000000276C: BEAF002E
	s_mov_b32 s10, 0x80000000                                  // 000000002770: BE8A00FF 80000000
	s_mov_b32 s11, 0x20000                                     // 000000002778: BE8B00FF 00020000
	s_and_b32 s9, s9, 0xffff                                   // 000000002780: 8609FF09 0000FFFF
	s_or_b32 s9, s9, 0                                         // 000000002788: 87098009
	s_mov_b32 s84, s8                                          // 00000000278C: BED40008
	s_mov_b32 s85, s9                                          // 000000002790: BED50009
	s_mov_b32 s6, 0x80000000                                   // 000000002794: BE8600FF 80000000
	s_mov_b32 s7, 0x20000                                      // 00000000279C: BE8700FF 00020000
	s_and_b32 s5, s5, 0xffff                                   // 0000000027A4: 8605FF05 0000FFFF
	s_or_b32 s5, s5, 0                                         // 0000000027AC: 87058005
	s_mov_b32 s82, s4                                          // 0000000027B0: BED20004
	s_mov_b32 s83, s5                                          // 0000000027B4: BED30005
	s_mov_b32 s30, 0x80000000                                  // 0000000027B8: BE9E00FF 80000000
	s_mov_b32 s31, 0x20000                                     // 0000000027C0: BE9F00FF 00020000
	s_and_b32 s29, s29, 0xffff                                 // 0000000027C8: 861DFF1D 0000FFFF
	s_or_b32 s29, s29, 0                                       // 0000000027D0: 871D801D
	s_mov_b32 s94, s28                                         // 0000000027D4: BEDE001C
	s_mov_b32 s95, s29                                         // 0000000027D8: BEDF001D
	s_mov_b32 s34, 0x80000000                                  // 0000000027DC: BEA200FF 80000000
	s_mov_b32 s35, 0x20000                                     // 0000000027E4: BEA300FF 00020000
	s_and_b32 s33, s33, 0xffff                                 // 0000000027EC: 8621FF21 0000FFFF
	s_or_b32 s33, s33, 0                                       // 0000000027F4: 87218021
	s_mov_b32 s96, s32                                         // 0000000027F8: BEE00020
	s_mov_b32 s97, s33                                         // 0000000027FC: BEE10021
	s_mov_b32 s14, 0x80000000                                  // 000000002800: BE8E00FF 80000000
	s_mov_b32 s15, 0x20000                                     // 000000002808: BE8F00FF 00020000
	s_and_b32 s13, s13, 0xffff                                 // 000000002810: 860DFF0D 0000FFFF
	s_or_b32 s13, s13, 0                                       // 000000002818: 870D800D
	s_mul_i32 s55, s57, 0x100                                  // 00000000281C: 9237FF39 00000100
	s_add_u32 s86, s12, s55                                    // 000000002824: 8056370C
	s_addc_u32 s87, s13, 0                                     // 000000002828: 8257800D
	s_mov_b32 s18, 0x80000000                                  // 00000000282C: BE9200FF 80000000
	s_mov_b32 s19, 0x20000                                     // 000000002834: BE9300FF 00020000
	s_and_b32 s17, s17, 0xffff                                 // 00000000283C: 8611FF11 0000FFFF
	s_or_b32 s17, s17, 0                                       // 000000002844: 87118011
	s_add_u32 s88, s16, s55                                    // 000000002848: 80583710
	s_addc_u32 s89, s17, 0                                     // 00000000284C: 82598011
	s_mov_b32 s22, 0x80000000                                  // 000000002850: BE9600FF 80000000
	s_mov_b32 s23, 0x20000                                     // 000000002858: BE9700FF 00020000
	s_and_b32 s21, s21, 0xffff                                 // 000000002860: 8615FF15 0000FFFF
	s_or_b32 s21, s21, 0                                       // 000000002868: 87158015
	s_add_u32 s90, s20, 0                                      // 00000000286C: 805A8014
	s_addc_u32 s91, s21, 0                                     // 000000002870: 825B8015
	s_mov_b32 s26, 0x80000000                                  // 000000002874: BE9A00FF 80000000
	s_mov_b32 s27, 0x20000                                     // 00000000287C: BE9B00FF 00020000
	s_and_b32 s25, s25, 0xffff                                 // 000000002884: 8619FF19 0000FFFF
	s_or_b32 s25, s25, 0                                       // 00000000288C: 87198019
	s_add_u32 s92, s24, 0                                      // 000000002890: 805C8018
	s_addc_u32 s93, s25, 0                                     // 000000002894: 825D8019
	s_and_b32 s39, s39, 0xffff                                 // 000000002898: 8627FF27 0000FFFF
	s_and_b32 s41, s41, 0xffff                                 // 0000000028A0: 8629FF29 0000FFFF
	s_and_b32 s43, s43, 0xffff                                 // 0000000028A8: 862BFF2B 0000FFFF
	s_and_b32 s45, s45, 0xffff                                 // 0000000028B0: 862DFF2D 0000FFFF
	v_and_b32_e32 v196, 15, v0                                 // 0000000028B8: 2788008F
	v_lshlrev_b32_e32 v196, 4, v196                            // 0000000028BC: 25898884
	s_lshl_b32 s54, s57, 2                                     // 0000000028C0: 8E368239
	v_lshrrev_b32_e32 v188, 4, v0                              // 0000000028C4: 21780084
	v_add_u32_e32 v188, s54, v188                              // 0000000028C8: 69797836
	v_add_u32_e32 v189, 16, v188                               // 0000000028CC: 697B7890
	v_add_u32_e32 v190, 16, v189                               // 0000000028D0: 697D7A90
	v_cvt_f32_u32_e32 v204, s53                                // 0000000028D4: 7F980C35
	v_sub_i32 v192, 0, s53                                     // 0000000028D8: D29D00C0 00006A80
	v_rcp_iflag_f32_e32 v204, v204                             // 0000000028E0: 7F9847CC
	s_nop 0                                                    // 0000000028E4: BF800000
	v_mul_f32_e32 v204, 0x4f7ffffe, v204                       // 0000000028E8: 0B9998FF 4F7FFFFE
	v_cvt_u32_f32_e32 v204, v204                               // 0000000028F0: 7F980FCC
	v_mul_lo_u32 v205, v192, v204                              // 0000000028F4: D28500CD 000399C0
	v_mul_hi_u32 v205, v204, v205                              // 0000000028FC: D28600CD 00039BCC
	v_add_u32_e32 v204, v204, v205                             // 000000002904: 69999BCC
	v_mul_hi_u32 v204, v188, v204                              // 000000002908: D28600CC 000399BC
	v_mul_lo_u32 v205, v204, s53                               // 000000002910: D28500CD 00006BCC
	v_sub_u32_e32 v207, v188, v205                             // 000000002918: 6B9F9BBC
	v_add_u32_e32 v206, 1, v204                                // 00000000291C: 699D9881
	v_cmp_le_u32_e32 vcc, s53, v207                            // 000000002920: 7D979E35
	v_subrev_u32_e32 v205, s53, v207                           // 000000002924: 6D9B9E35
	s_nop 0                                                    // 000000002928: BF800000
	v_cndmask_b32_e32 v204, v204, v206, vcc                    // 00000000292C: 01999DCC
	v_cndmask_b32_e32 v207, v207, v205, vcc                    // 000000002930: 019F9BCF
	v_add_u32_e32 v205, 1, v204                                // 000000002934: 699B9881
	v_cmp_le_u32_e32 vcc, s53, v207                            // 000000002938: 7D979E35
	s_nop 1                                                    // 00000000293C: BF800001
	v_cndmask_b32_e32 v192, v204, v205, vcc                    // 000000002940: 01819BCC
	v_mul_i32_i24_e32 v206, s53, v192                          // 000000002944: 0D9D8035
	v_sub_u32_e32 v206, v188, v206                             // 000000002948: 6B9D9DBC
	v_mul_u32_u24_e32 v206, 0x100, v206                        // 00000000294C: 119D9CFF 00000100
	v_mul_u32_u24_e32 v223, s49, v192                          // 000000002954: 11BF8031
	v_add3_u32 v223, v206, v223, v196                          // 000000002958: D1FF00DF 0713BFCE
	v_mul_u32_u24_e32 v226, s67, v192                          // 000000002960: 11C58043
	v_add3_u32 v226, v206, v226, v196                          // 000000002964: D1FF00E2 0713C5CE
	v_cvt_f32_u32_e32 v204, s53                                // 00000000296C: 7F980C35
	v_sub_i32 v192, 0, s53                                     // 000000002970: D29D00C0 00006A80
	v_rcp_iflag_f32_e32 v204, v204                             // 000000002978: 7F9847CC
	s_nop 0                                                    // 00000000297C: BF800000
	v_mul_f32_e32 v204, 0x4f7ffffe, v204                       // 000000002980: 0B9998FF 4F7FFFFE
	v_cvt_u32_f32_e32 v204, v204                               // 000000002988: 7F980FCC
	v_mul_lo_u32 v205, v192, v204                              // 00000000298C: D28500CD 000399C0
	v_mul_hi_u32 v205, v204, v205                              // 000000002994: D28600CD 00039BCC
	v_add_u32_e32 v204, v204, v205                             // 00000000299C: 69999BCC
	v_mul_hi_u32 v204, v189, v204                              // 0000000029A0: D28600CC 000399BD
	v_mul_lo_u32 v205, v204, s53                               // 0000000029A8: D28500CD 00006BCC
	v_sub_u32_e32 v207, v189, v205                             // 0000000029B0: 6B9F9BBD
	v_add_u32_e32 v206, 1, v204                                // 0000000029B4: 699D9881
	v_cmp_le_u32_e32 vcc, s53, v207                            // 0000000029B8: 7D979E35
	v_subrev_u32_e32 v205, s53, v207                           // 0000000029BC: 6D9B9E35
	s_nop 0                                                    // 0000000029C0: BF800000
	v_cndmask_b32_e32 v204, v204, v206, vcc                    // 0000000029C4: 01999DCC
	v_cndmask_b32_e32 v207, v207, v205, vcc                    // 0000000029C8: 019F9BCF
	v_add_u32_e32 v205, 1, v204                                // 0000000029CC: 699B9881
	v_cmp_le_u32_e32 vcc, s53, v207                            // 0000000029D0: 7D979E35
	s_nop 1                                                    // 0000000029D4: BF800001
	v_cndmask_b32_e32 v192, v204, v205, vcc                    // 0000000029D8: 01819BCC
	v_mul_i32_i24_e32 v206, s53, v192                          // 0000000029DC: 0D9D8035
	v_sub_u32_e32 v206, v189, v206                             // 0000000029E0: 6B9D9DBD
	v_mul_u32_u24_e32 v206, 0x100, v206                        // 0000000029E4: 119D9CFF 00000100
	v_mul_u32_u24_e32 v224, s49, v192                          // 0000000029EC: 11C18031
	v_add3_u32 v224, v206, v224, v196                          // 0000000029F0: D1FF00E0 0713C1CE
	v_mul_u32_u24_e32 v227, s67, v192                          // 0000000029F8: 11C78043
	v_add3_u32 v227, v206, v227, v196                          // 0000000029FC: D1FF00E3 0713C7CE
	v_cvt_f32_u32_e32 v204, s53                                // 000000002A04: 7F980C35
	v_sub_i32 v192, 0, s53                                     // 000000002A08: D29D00C0 00006A80
	v_rcp_iflag_f32_e32 v204, v204                             // 000000002A10: 7F9847CC
	s_nop 0                                                    // 000000002A14: BF800000
	v_mul_f32_e32 v204, 0x4f7ffffe, v204                       // 000000002A18: 0B9998FF 4F7FFFFE
	v_cvt_u32_f32_e32 v204, v204                               // 000000002A20: 7F980FCC
	v_mul_lo_u32 v205, v192, v204                              // 000000002A24: D28500CD 000399C0
	v_mul_hi_u32 v205, v204, v205                              // 000000002A2C: D28600CD 00039BCC
	v_add_u32_e32 v204, v204, v205                             // 000000002A34: 69999BCC
	v_mul_hi_u32 v204, v190, v204                              // 000000002A38: D28600CC 000399BE
	v_mul_lo_u32 v205, v204, s53                               // 000000002A40: D28500CD 00006BCC
	v_sub_u32_e32 v207, v190, v205                             // 000000002A48: 6B9F9BBE
	v_add_u32_e32 v206, 1, v204                                // 000000002A4C: 699D9881
	v_cmp_le_u32_e32 vcc, s53, v207                            // 000000002A50: 7D979E35
	v_subrev_u32_e32 v205, s53, v207                           // 000000002A54: 6D9B9E35
	s_nop 0                                                    // 000000002A58: BF800000
	v_cndmask_b32_e32 v204, v204, v206, vcc                    // 000000002A5C: 01999DCC
	v_cndmask_b32_e32 v207, v207, v205, vcc                    // 000000002A60: 019F9BCF
	v_add_u32_e32 v205, 1, v204                                // 000000002A64: 699B9881
	v_cmp_le_u32_e32 vcc, s53, v207                            // 000000002A68: 7D979E35
	s_nop 1                                                    // 000000002A6C: BF800001
	v_cndmask_b32_e32 v192, v204, v205, vcc                    // 000000002A70: 01819BCC
	v_mul_i32_i24_e32 v206, s53, v192                          // 000000002A74: 0D9D8035
	v_sub_u32_e32 v206, v190, v206                             // 000000002A78: 6B9D9DBE
	v_mul_u32_u24_e32 v206, 0x100, v206                        // 000000002A7C: 119D9CFF 00000100
	v_mul_u32_u24_e32 v225, s49, v192                          // 000000002A84: 11C38031
	v_add3_u32 v225, v206, v225, v196                          // 000000002A88: D1FF00E1 0713C3CE
	v_mul_u32_u24_e32 v228, s67, v192                          // 000000002A90: 11C98043
	v_add3_u32 v228, v206, v228, v196                          // 000000002A94: D1FF00E4 0713C9CE
	s_lshl_b32 s54, s57, 6                                     // 000000002A9C: 8E368639
	v_lshrrev_b32_e32 v196, 4, v0                              // 000000002AA0: 21880084
	v_lshlrev_b32_e32 v196, 4, v196                            // 000000002AA4: 25898884
	v_add_u32_e32 v196, s54, v196                              // 000000002AA8: 69898836
	v_and_b32_e32 v188, 15, v0                                 // 000000002AAC: 2778008F
	v_add_u32_e64 v189, v188, 16                               // 000000002AB0: D13400BD 000121BC
	v_add_u32_e64 v190, v188, 32                               // 000000002AB8: D13400BE 000141BC
	s_mul_i32 s54, s48, s53                                    // 000000002AC0: 92363530
	s_lshl_b32 s54, s54, 2                                     // 000000002AC4: 8E368236
	s_mul_i32 s55, s54, 0x80                                   // 000000002AC8: 9237FF36 00000080
	v_cvt_f32_u32_e32 v204, s53                                // 000000002AD0: 7F980C35
	v_sub_i32 v192, 0, s53                                     // 000000002AD4: D29D00C0 00006A80
	v_rcp_iflag_f32_e32 v204, v204                             // 000000002ADC: 7F9847CC
	s_nop 0                                                    // 000000002AE0: BF800000
	v_mul_f32_e32 v204, 0x4f7ffffe, v204                       // 000000002AE4: 0B9998FF 4F7FFFFE
	v_cvt_u32_f32_e32 v204, v204                               // 000000002AEC: 7F980FCC
	v_mul_lo_u32 v205, v192, v204                              // 000000002AF0: D28500CD 000399C0
	v_mul_hi_u32 v205, v204, v205                              // 000000002AF8: D28600CD 00039BCC
	v_add_u32_e32 v204, v204, v205                             // 000000002B00: 69999BCC
	v_mul_hi_u32 v204, v188, v204                              // 000000002B04: D28600CC 000399BC
	v_mul_lo_u32 v205, v204, s53                               // 000000002B0C: D28500CD 00006BCC
	v_sub_u32_e32 v207, v188, v205                             // 000000002B14: 6B9F9BBC
	v_add_u32_e32 v206, 1, v204                                // 000000002B18: 699D9881
	v_cmp_le_u32_e32 vcc, s53, v207                            // 000000002B1C: 7D979E35
	v_subrev_u32_e32 v205, s53, v207                           // 000000002B20: 6D9B9E35
	s_nop 0                                                    // 000000002B24: BF800000
	v_cndmask_b32_e32 v204, v204, v206, vcc                    // 000000002B28: 01999DCC
	v_cndmask_b32_e32 v207, v207, v205, vcc                    // 000000002B2C: 019F9BCF
	v_add_u32_e32 v205, 1, v204                                // 000000002B30: 699B9881
	v_cmp_le_u32_e32 vcc, s53, v207                            // 000000002B34: 7D979E35
	s_nop 1                                                    // 000000002B38: BF800001
	v_cndmask_b32_e32 v192, v204, v205, vcc                    // 000000002B3C: 01819BCC
	v_mul_i32_i24_e32 v206, s53, v192                          // 000000002B40: 0D9D8035
	v_sub_u32_e32 v206, v188, v206                             // 000000002B44: 6B9D9DBC
	v_lshlrev_b32_e32 v207, 2, v206                            // 000000002B48: 259F9C82
	v_mul_u32_u24_e32 v237, s54, v192                          // 000000002B4C: 11DB8036
	v_add_u32_e32 v237, v207, v237                             // 000000002B50: 69DBDBCF
	v_mul_u32_u24_e32 v207, 0x200, v206                        // 000000002B54: 119F9CFF 00000200
	v_mul_u32_u24_e32 v240, s55, v192                          // 000000002B5C: 11E18037
	v_add3_u32 v240, v207, v240, v196                          // 000000002B60: D1FF00F0 0713E1CF
	v_cvt_f32_u32_e32 v204, s53                                // 000000002B68: 7F980C35
	v_sub_i32 v192, 0, s53                                     // 000000002B6C: D29D00C0 00006A80
	v_rcp_iflag_f32_e32 v204, v204                             // 000000002B74: 7F9847CC
	s_nop 0                                                    // 000000002B78: BF800000
	v_mul_f32_e32 v204, 0x4f7ffffe, v204                       // 000000002B7C: 0B9998FF 4F7FFFFE
	v_cvt_u32_f32_e32 v204, v204                               // 000000002B84: 7F980FCC
	v_mul_lo_u32 v205, v192, v204                              // 000000002B88: D28500CD 000399C0
	v_mul_hi_u32 v205, v204, v205                              // 000000002B90: D28600CD 00039BCC
	v_add_u32_e32 v204, v204, v205                             // 000000002B98: 69999BCC
	v_mul_hi_u32 v204, v189, v204                              // 000000002B9C: D28600CC 000399BD
	v_mul_lo_u32 v205, v204, s53                               // 000000002BA4: D28500CD 00006BCC
	v_sub_u32_e32 v207, v189, v205                             // 000000002BAC: 6B9F9BBD
	v_add_u32_e32 v206, 1, v204                                // 000000002BB0: 699D9881
	v_cmp_le_u32_e32 vcc, s53, v207                            // 000000002BB4: 7D979E35
	v_subrev_u32_e32 v205, s53, v207                           // 000000002BB8: 6D9B9E35
	s_nop 0                                                    // 000000002BBC: BF800000
	v_cndmask_b32_e32 v204, v204, v206, vcc                    // 000000002BC0: 01999DCC
	v_cndmask_b32_e32 v207, v207, v205, vcc                    // 000000002BC4: 019F9BCF
	v_add_u32_e32 v205, 1, v204                                // 000000002BC8: 699B9881
	v_cmp_le_u32_e32 vcc, s53, v207                            // 000000002BCC: 7D979E35
	s_nop 1                                                    // 000000002BD0: BF800001
	v_cndmask_b32_e32 v192, v204, v205, vcc                    // 000000002BD4: 01819BCC
	v_mul_i32_i24_e32 v206, s53, v192                          // 000000002BD8: 0D9D8035
	v_sub_u32_e32 v206, v189, v206                             // 000000002BDC: 6B9D9DBD
	v_lshlrev_b32_e32 v207, 2, v206                            // 000000002BE0: 259F9C82
	v_mul_u32_u24_e32 v238, s54, v192                          // 000000002BE4: 11DD8036
	v_add_u32_e32 v238, v207, v238                             // 000000002BE8: 69DDDDCF
	v_mul_u32_u24_e32 v207, 0x200, v206                        // 000000002BEC: 119F9CFF 00000200
	v_mul_u32_u24_e32 v241, s55, v192                          // 000000002BF4: 11E38037
	v_add3_u32 v241, v207, v241, v196                          // 000000002BF8: D1FF00F1 0713E3CF
	v_cvt_f32_u32_e32 v204, s53                                // 000000002C00: 7F980C35
	v_sub_i32 v192, 0, s53                                     // 000000002C04: D29D00C0 00006A80
	v_rcp_iflag_f32_e32 v204, v204                             // 000000002C0C: 7F9847CC
	s_nop 0                                                    // 000000002C10: BF800000
	v_mul_f32_e32 v204, 0x4f7ffffe, v204                       // 000000002C14: 0B9998FF 4F7FFFFE
	v_cvt_u32_f32_e32 v204, v204                               // 000000002C1C: 7F980FCC
	v_mul_lo_u32 v205, v192, v204                              // 000000002C20: D28500CD 000399C0
	v_mul_hi_u32 v205, v204, v205                              // 000000002C28: D28600CD 00039BCC
	v_add_u32_e32 v204, v204, v205                             // 000000002C30: 69999BCC
	v_mul_hi_u32 v204, v190, v204                              // 000000002C34: D28600CC 000399BE
	v_mul_lo_u32 v205, v204, s53                               // 000000002C3C: D28500CD 00006BCC
	v_sub_u32_e32 v207, v190, v205                             // 000000002C44: 6B9F9BBE
	v_add_u32_e32 v206, 1, v204                                // 000000002C48: 699D9881
	v_cmp_le_u32_e32 vcc, s53, v207                            // 000000002C4C: 7D979E35
	v_subrev_u32_e32 v205, s53, v207                           // 000000002C50: 6D9B9E35
	s_nop 0                                                    // 000000002C54: BF800000
	v_cndmask_b32_e32 v204, v204, v206, vcc                    // 000000002C58: 01999DCC
	v_cndmask_b32_e32 v207, v207, v205, vcc                    // 000000002C5C: 019F9BCF
	v_add_u32_e32 v205, 1, v204                                // 000000002C60: 699B9881
	v_cmp_le_u32_e32 vcc, s53, v207                            // 000000002C64: 7D979E35
	s_nop 1                                                    // 000000002C68: BF800001
	v_cndmask_b32_e32 v192, v204, v205, vcc                    // 000000002C6C: 01819BCC
	v_mul_i32_i24_e32 v206, s53, v192                          // 000000002C70: 0D9D8035
	v_sub_u32_e32 v206, v190, v206                             // 000000002C74: 6B9D9DBE
	v_lshlrev_b32_e32 v207, 2, v206                            // 000000002C78: 259F9C82
	v_mul_u32_u24_e32 v239, s54, v192                          // 000000002C7C: 11DF8036
	v_add_u32_e32 v239, v207, v239                             // 000000002C80: 69DFDFCF
	v_mul_u32_u24_e32 v207, 0x200, v206                        // 000000002C84: 119F9CFF 00000200
	v_mul_u32_u24_e32 v242, s55, v192                          // 000000002C8C: 11E58037
	v_add3_u32 v242, v207, v242, v196                          // 000000002C90: D1FF00F2 0713E5CF
	s_mul_i32 s54, s57, 64                                     // 000000002C98: 9236C039
	v_and_b32_e32 v204, 15, v0                                 // 000000002C9C: 2798008F
	v_mul_i32_i24_e32 v204, 0x100, v204                        // 000000002CA0: 0D9998FF 00000100
	v_lshrrev_b32_e32 v205, 4, v0                              // 000000002CA8: 219A0084
	v_mul_i32_i24_e32 v205, 16, v205                           // 000000002CAC: 0D9B9A90
	v_add3_u32 v243, v204, v205, s54                           // 000000002CB0: D1FF00F3 00DB9BCC
	v_and_b32_e32 v245, 15, v0                                 // 000000002CB8: 27EA008F
	v_mul_i32_i24_e32 v245, 16, v245                           // 000000002CBC: 0DEBEA90
	s_mul_i32 s54, s57, 0x240                                  // 000000002CC0: 9236FF39 00000240
	v_lshrrev_b32_e32 v204, 4, v0                              // 000000002CC8: 21980084
	v_lshlrev_b32_e32 v204, 7, v204                            // 000000002CCC: 25999887
	v_lshrrev_b32_e32 v205, 5, v0                              // 000000002CD0: 219A0085
	v_lshlrev_b32_e32 v205, 5, v205                            // 000000002CD4: 259B9A85
	v_and_b32_e32 v206, 15, v0                                 // 000000002CD8: 279C008F
	v_lshlrev_b32_e32 v206, 3, v206                            // 000000002CDC: 259D9C83
	v_add3_u32 v204, v204, v205, v206                          // 000000002CE0: D1FF00CC 073B9BCC
	v_add_u32_e32 v244, s54, v204                              // 000000002CE8: 69E99836
	v_and_b32_e32 v204, 15, v0                                 // 000000002CEC: 2798008F
	v_lshlrev_b32_e32 v205, 7, v204                            // 000000002CF0: 259B9887
	v_lshrrev_b32_e32 v204, 1, v204                            // 000000002CF4: 21999881
	v_lshlrev_b32_e32 v204, 5, v204                            // 000000002CF8: 25999885
	v_lshrrev_b32_e32 v206, 4, v0                              // 000000002CFC: 219C0084
	v_lshlrev_b32_e32 v206, 4, v206                            // 000000002D00: 259D9C84
	v_add3_u32 v246, v204, v205, v206                          // 000000002D04: D1FF00F6 073B9BCC
	s_mul_i32 s54, s57, 0x240                                  // 000000002D0C: 9236FF39 00000240
	v_lshrrev_b32_e32 v204, 5, v0                              // 000000002D14: 21980085
	v_mul_i32_i24_e32 v204, 0x120, v204                        // 000000002D18: 0D9998FF 00000120
	v_lshrrev_b32_e32 v205, 4, v0                              // 000000002D20: 219A0084
	v_and_b32_e32 v205, 1, v205                                // 000000002D24: 279B9A81
	v_lshlrev_b32_e32 v205, 3, v205                            // 000000002D28: 259B9A83
	v_and_b32_e32 v206, 15, v0                                 // 000000002D2C: 279C008F
	v_lshlrev_b32_e32 v206, 4, v206                            // 000000002D30: 259D9C84
	v_add3_u32 v247, v204, v205, v206                          // 000000002D34: D1FF00F7 073B9BCC
	v_add_u32_e32 v247, s54, v247                              // 000000002D3C: 69EFEE36
	s_lshl_b32 s54, s57, 6                                     // 000000002D40: 8E368639
	v_lshrrev_b32_e32 v204, 4, v0                              // 000000002D44: 21980084
	v_lshlrev_b32_e32 v204, 4, v204                            // 000000002D48: 25999884
	v_and_b32_e32 v205, 15, v0                                 // 000000002D4C: 279A008F
	v_mul_i32_i24_e32 v205, 0x120, v205                        // 000000002D50: 0D9B9AFF 00000120
	v_add3_u32 v248, v204, v205, s54                           // 000000002D58: D1FF00F8 00DB9BCC
	v_lshrrev_b32_e32 v204, 4, v0                              // 000000002D60: 21980084
	v_and_b32_e32 v205, 15, v0                                 // 000000002D64: 279A008F
	v_lshlrev_b32_e32 v206, 4, v205                            // 000000002D68: 259D9A84
	v_mul_i32_i24_e32 v229, 0x4000, v204                       // 000000002D6C: 0DCB98FF 00004000
	v_add_u32_e32 v229, v206, v229                             // 000000002D74: 69CBCBCE
	v_add_u32_e32 v230, 0x10000, v229                          // 000000002D78: 69CDCAFF 00010000
	v_mul_i32_i24_e32 v231, 0x800, v204                        // 000000002D80: 0DCF98FF 00000800
	v_add_u32_e32 v231, v206, v231                             // 000000002D88: 69CFCFCE
	v_add_u32_e32 v232, 0x2000, v231                           // 000000002D8C: 69D1CEFF 00002000
	v_add_u32_e32 v233, 0x2000, v232                           // 000000002D94: 69D3D0FF 00002000
	v_add_u32_e32 v234, 0x2000, v233                           // 000000002D9C: 69D5D2FF 00002000
	v_mov_b32_e32 v235, 0                                      // 000000002DA4: 7FD60280
	v_mov_b32_e32 v236, 0                                      // 000000002DA8: 7FD80280
	s_lshl_b32 s54, s57, 4                                     // 000000002DAC: 8E368439
	v_lshrrev_b32_e32 v221, 4, v0                              // 000000002DB0: 21BA0084
	v_lshlrev_b32_e32 v221, 2, v221                            // 000000002DB4: 25BBBA82
	v_add_u32_e32 v221, s54, v221                              // 000000002DB8: 69BBBA36
	s_lshl_b32 s54, s57, 6                                     // 000000002DBC: 8E368639
	v_lshrrev_b32_e32 v204, 4, v0                              // 000000002DC0: 21980084
	v_lshlrev_b32_e32 v204, 8, v204                            // 000000002DC4: 25999888
	v_and_b32_e32 v205, 15, v0                                 // 000000002DC8: 279A008F
	v_lshlrev_b32_e32 v205, 2, v205                            // 000000002DCC: 259B9A82
	v_add3_u32 v249, s54, v204, v205                           // 000000002DD0: D1FF00F9 07379836
	v_lshlrev_b32_e32 v249, 2, v249                            // 000000002DD8: 25F3F282
	v_and_b32_e32 v250, 15, v0                                 // 000000002DDC: 27F4008F
	v_lshlrev_b32_e32 v250, 4, v250                            // 000000002DE0: 25F5F484
	s_lshl_b32 s54, s57, 8                                     // 000000002DE4: 8E368839
	v_and_b32_e32 v205, 15, v0                                 // 000000002DE8: 279A008F
	v_lshlrev_b32_e32 v205, 4, v205                            // 000000002DEC: 259B9A84
	v_lshrrev_b32_e32 v206, 4, v0                              // 000000002DF0: 219C0084
	v_lshlrev_b32_e32 v206, 2, v206                            // 000000002DF4: 259D9C82
	v_add3_u32 v251, v205, v206, s54                           // 000000002DF8: D1FF00FB 00DB9DCD
	v_and_b32_e32 v204, 15, v0                                 // 000000002E00: 2798008F
	v_lshlrev_b32_e32 v204, 4, v204                            // 000000002E04: 25999884
	v_lshrrev_b32_e32 v205, 4, v0                              // 000000002E08: 219A0084
	v_lshlrev_b32_e32 v205, 8, v205                            // 000000002E0C: 259B9A88
	v_add_u32_e32 v252, v204, v205                             // 000000002E10: 69F99BCC
	s_waitcnt lgkmcnt(0)                                       // 000000002E14: BF8CC07F

0000000000002e18 <label_0206>:
	s_cmp_lt_i32 s80, s81                                      // 000000002E18: BF045150
	s_cbranch_scc0 label_43BD                                  // 000000002E1C: BF8441B5
	s_lshl_b32 s54, s80, 5                                     // 000000002E20: 8E368550
	s_load_dwordx8 s[72:79], s[38:39], s54                     // 000000002E24: C00C1213 00000036
	v_mov_b32_e32 v164, 0xff7fffff                             // 000000002E2C: 7F4802FF FF7FFFFF
	v_mov_b64_e32 v[170:171], 0                                // 000000002E34: 7F547080
	v_mov_b64_e32 v[176:177], 0                                // 000000002E38: 7F607080
	v_mov_b64_e32 v[158:159], 0                                // 000000002E3C: 7F3C7080
	v_mov_b32_e32 v165, 0xff7fffff                             // 000000002E40: 7F4A02FF FF7FFFFF
	v_mov_b64_e32 v[172:173], 0                                // 000000002E48: 7F587080
	v_mov_b64_e32 v[178:179], 0                                // 000000002E4C: 7F647080
	v_mov_b64_e32 v[160:161], 0                                // 000000002E50: 7F407080
	v_mov_b32_e32 v166, 0xff7fffff                             // 000000002E54: 7F4C02FF FF7FFFFF
	v_mov_b64_e32 v[174:175], 0                                // 000000002E5C: 7F5C7080
	v_mov_b64_e32 v[180:181], 0                                // 000000002E60: 7F687080
	v_mov_b64_e32 v[162:163], 0                                // 000000002E64: 7F447080
	v_mov_b32_e32 v124, 0                                      // 000000002E68: 7EF80280
	v_mov_b32_e32 v100, 0                                      // 000000002E6C: 7EC80280
	v_mov_b32_e32 v125, 0                                      // 000000002E70: 7EFA0280
	v_mov_b32_e32 v101, 0                                      // 000000002E74: 7ECA0280
	v_mov_b32_e32 v126, 0                                      // 000000002E78: 7EFC0280
	v_mov_b32_e32 v102, 0                                      // 000000002E7C: 7ECC0280
	v_mov_b32_e32 v127, 0                                      // 000000002E80: 7EFE0280
	v_mov_b32_e32 v103, 0                                      // 000000002E84: 7ECE0280
	v_mov_b32_e32 v128, 0                                      // 000000002E88: 7F000280
	v_mov_b32_e32 v104, 0                                      // 000000002E8C: 7ED00280
	v_mov_b32_e32 v129, 0                                      // 000000002E90: 7F020280
	v_mov_b32_e32 v105, 0                                      // 000000002E94: 7ED20280
	v_mov_b32_e32 v130, 0                                      // 000000002E98: 7F040280
	v_mov_b32_e32 v106, 0                                      // 000000002E9C: 7ED40280
	v_mov_b32_e32 v131, 0                                      // 000000002EA0: 7F060280
	v_mov_b32_e32 v107, 0                                      // 000000002EA4: 7ED60280
	v_mov_b32_e32 v132, 0                                      // 000000002EA8: 7F080280
	v_mov_b32_e32 v108, 0                                      // 000000002EAC: 7ED80280
	v_mov_b32_e32 v133, 0                                      // 000000002EB0: 7F0A0280
	v_mov_b32_e32 v109, 0                                      // 000000002EB4: 7EDA0280
	v_mov_b32_e32 v134, 0                                      // 000000002EB8: 7F0C0280
	v_mov_b32_e32 v110, 0                                      // 000000002EBC: 7EDC0280
	v_mov_b32_e32 v135, 0                                      // 000000002EC0: 7F0E0280
	v_mov_b32_e32 v111, 0                                      // 000000002EC4: 7EDE0280
	v_mov_b32_e32 v136, 0                                      // 000000002EC8: 7F100280
	v_mov_b32_e32 v112, 0                                      // 000000002ECC: 7EE00280
	v_mov_b32_e32 v137, 0                                      // 000000002ED0: 7F120280
	v_mov_b32_e32 v113, 0                                      // 000000002ED4: 7EE20280
	v_mov_b32_e32 v138, 0                                      // 000000002ED8: 7F140280
	v_mov_b32_e32 v114, 0                                      // 000000002EDC: 7EE40280
	v_mov_b32_e32 v139, 0                                      // 000000002EE0: 7F160280
	v_mov_b32_e32 v115, 0                                      // 000000002EE4: 7EE60280
	v_mov_b32_e32 v140, 0                                      // 000000002EE8: 7F180280
	v_mov_b32_e32 v116, 0                                      // 000000002EEC: 7EE80280
	v_mov_b32_e32 v141, 0                                      // 000000002EF0: 7F1A0280
	v_mov_b32_e32 v117, 0                                      // 000000002EF4: 7EEA0280
	v_mov_b32_e32 v142, 0                                      // 000000002EF8: 7F1C0280
	v_mov_b32_e32 v118, 0                                      // 000000002EFC: 7EEC0280
	v_mov_b32_e32 v143, 0                                      // 000000002F00: 7F1E0280
	v_mov_b32_e32 v119, 0                                      // 000000002F04: 7EEE0280
	v_mov_b32_e32 v144, 0                                      // 000000002F08: 7F200280
	v_mov_b32_e32 v120, 0                                      // 000000002F0C: 7EF00280
	v_mov_b32_e32 v145, 0                                      // 000000002F10: 7F220280
	v_mov_b32_e32 v121, 0                                      // 000000002F14: 7EF20280
	v_mov_b32_e32 v146, 0                                      // 000000002F18: 7F240280
	v_mov_b32_e32 v122, 0                                      // 000000002F1C: 7EF40280
	v_mov_b32_e32 v147, 0                                      // 000000002F20: 7F260280
	v_mov_b32_e32 v123, 0                                      // 000000002F24: 7EF60280
	s_waitcnt lgkmcnt(0)                                       // 000000002F28: BF8CC07F
	s_mul_i32 s64, s76, 0x400                                  // 000000002F2C: 9240FF4C 00000400
	s_lshl_b32 s54, s72, 2                                     // 000000002F34: 8E368248
	s_load_dword s60, s[44:45], s54                            // 000000002F38: C0000F16 00000036
	s_load_dword s61, s[40:41], s54                            // 000000002F40: C0000F54 00000036
	s_lshl_b32 s68, s76, 2                                     // 000000002F48: 8E44824C
	s_cmp_lt_u32 s76, s77                                      // 000000002F4C: BF0A4D4C
	s_cselect_b32 s68, s68, 0                                  // 000000002F50: 85448044
	s_addk_i32 s76, 0x1                                        // 000000002F54: B74C0001
	s_load_dword s59, s[42:43], s68                            // 000000002F58: C0000ED5 00000044
	s_and_b32 s79, s79, 0xffff                                 // 000000002F60: 864FFF4F 0000FFFF
	v_cvt_f32_u32_e32 v204, s53                                // 000000002F68: 7F980C35
	s_sub_i32 s78, 0, s53                                      // 000000002F6C: 81CE3580
	v_rcp_iflag_f32_e32 v204, v204                             // 000000002F70: 7F9847CC
	s_nop 0                                                    // 000000002F74: BF800000
	v_mul_f32_e32 v204, 0x4f7ffffe, v204                       // 000000002F78: 0B9998FF 4F7FFFFE
	v_cvt_u32_f32_e32 v204, v204                               // 000000002F80: 7F980FCC
	v_mul_lo_u32 v205, s78, v204                               // 000000002F84: D28500CD 0003984E
	v_mul_hi_u32 v205, v204, v205                              // 000000002F8C: D28600CD 00039BCC
	v_add_u32_e32 v204, v204, v205                             // 000000002F94: 69999BCC
	v_mul_hi_u32 v204, s79, v204                               // 000000002F98: D28600CC 0003984F
	v_mul_lo_u32 v205, v204, s53                               // 000000002FA0: D28500CD 00006BCC
	v_sub_u32_e32 v207, s79, v205                              // 000000002FA8: 6B9F9A4F
	v_add_u32_e32 v206, 1, v204                                // 000000002FAC: 699D9881
	v_cmp_le_u32_e32 vcc, s53, v207                            // 000000002FB0: 7D979E35
	v_subrev_u32_e32 v205, s53, v207                           // 000000002FB4: 6D9B9E35
	s_nop 0                                                    // 000000002FB8: BF800000
	v_cndmask_b32_e32 v204, v204, v206, vcc                    // 000000002FBC: 01999DCC
	v_cndmask_b32_e32 v207, v207, v205, vcc                    // 000000002FC0: 019F9BCF
	v_add_u32_e32 v205, 1, v204                                // 000000002FC4: 699B9881
	v_cmp_le_u32_e32 vcc, s53, v207                            // 000000002FC8: 7D979E35
	s_nop 1                                                    // 000000002FCC: BF800001
	v_cndmask_b32_e32 v207, v204, v205, vcc                    // 000000002FD0: 019F9BCC
	s_nop 3                                                    // 000000002FD4: BF800003
	v_readfirstlane_b32 s78, v207                              // 000000002FD8: 7E9C05CF
	s_nop 3                                                    // 000000002FDC: BF800003
	s_mul_i32 s65, s53, 0x100                                  // 000000002FE0: 9241FF35 00000100
	s_add_u32 s54, s52, 1                                      // 000000002FE8: 80368134
	s_mul_i32 s54, s49, s54                                    // 000000002FEC: 92363631
	s_mul_i32 s54, s72, s54                                    // 000000002FF0: 92363648
	s_mul_i32 s55, s78, s65                                    // 000000002FF4: 9237414E
	s_add_u32 s54, s54, s55                                    // 000000002FF8: 80363736
	s_add_u32 s8, s84, s54                                     // 000000002FFC: 80083654
	s_addc_u32 s9, s85, 0                                      // 000000003000: 82098055
	s_mul_i32 s54, s52, s49                                    // 000000003004: 92363134
	s_add_u32 s10, s54, s65                                    // 000000003008: 800A4136
	s_add_u32 s54, s52, 1                                      // 00000000300C: 80368134
	s_mul_i32 s54, s54, s67                                    // 000000003010: 92364336
	s_mul_i32 s54, s54, s72                                    // 000000003014: 92364836
	s_mul_i32 s55, s78, s65                                    // 000000003018: 9237414E
	s_add_u32 s54, s54, s55                                    // 00000000301C: 80363736
	s_add_u32 s4, s82, s54                                     // 000000003020: 80043652
	s_addc_u32 s5, s83, 0                                      // 000000003024: 82058053
	s_mul_i32 s54, s52, s67                                    // 000000003028: 92364334
	s_add_u32 s6, s54, s65                                     // 00000000302C: 80064136
	s_mul_i32 s55, s53, 0x200                                  // 000000003030: 9237FF35 00000200
	s_mul_i32 s54, s73, s48                                    // 000000003038: 92363049
	s_add_u32 s54, s54, s78                                    // 00000000303C: 80364E36
	s_mul_i32 s54, s54, s55                                    // 000000003040: 92363736
	s_add_u32 s28, s94, s54                                    // 000000003044: 801C365E
	s_addc_u32 s29, s95, 0                                     // 000000003048: 821D805F
	s_add_u32 s54, s52, 1                                      // 00000000304C: 80368134
	s_mul_i32 s54, s54, s48                                    // 000000003050: 92363036
	s_mul_i32 s30, s54, s55                                    // 000000003054: 921E3736
	s_mul_i32 s55, s53, 4                                      // 000000003058: 92378435
	s_mul_i32 s54, s73, s48                                    // 00000000305C: 92363049
	s_add_u32 s54, s54, s78                                    // 000000003060: 80364E36
	s_mul_i32 s54, s54, s55                                    // 000000003064: 92363736
	s_add_u32 s32, s96, s54                                    // 000000003068: 80203660
	s_addc_u32 s33, s97, 0                                     // 00000000306C: 82218061
	s_add_u32 s54, s52, 1                                      // 000000003070: 80368134
	s_mul_i32 s54, s54, s48                                    // 000000003074: 92363036
	s_mul_i32 s34, s54, s55                                    // 000000003078: 92223736
	buffer_load_dwordx4 v[4:7], v223, s[8:11], 0 offen         // 00000000307C: E05C1000 800204DF
	buffer_load_dwordx4 v[8:11], v224, s[8:11], 0 offen        // 000000003084: E05C1000 800208E0
	buffer_load_dwordx4 v[12:15], v225, s[8:11], 0 offen       // 00000000308C: E05C1000 80020CE1
	s_waitcnt lgkmcnt(0)                                       // 000000003094: BF8CC07F
	s_mul_i32 s54, s60, 0x400                                  // 000000003098: 9236FF3C 00000400
	s_sub_i32 s64, s64, s54                                    // 0000000030A0: 81C03640
	s_mul_i32 s69, s59, s50                                    // 0000000030A4: 9245323B
	s_mul_i32 s71, s59, s66                                    // 0000000030A8: 9247423B
	s_mul_i32 s54, s78, s51                                    // 0000000030AC: 9236334E
	s_add_u32 s69, s69, s54                                    // 0000000030B0: 80453645
	s_mov_b32 s70, s69                                         // 0000000030B4: BEC60045
	s_mul_i32 s54, s78, 4                                      // 0000000030B8: 9236844E
	s_add_u32 s71, s71, s54                                    // 0000000030BC: 80473647
	s_add_u32 s12, s86, s69                                    // 0000000030C0: 800C4556
	s_addc_u32 s13, s87, 0                                     // 0000000030C4: 820D8057
	s_add_u32 s16, s88, s70                                    // 0000000030C8: 80104658
	s_addc_u32 s17, s89, 0                                     // 0000000030CC: 82118059
	s_add_u32 s20, s90, s71                                    // 0000000030D0: 8014475A
	s_addc_u32 s21, s91, 0                                     // 0000000030D4: 8215805B
	s_add_u32 s24, s92, s71                                    // 0000000030D8: 8018475C
	s_addc_u32 s25, s93, 0                                     // 0000000030DC: 8219805D
	s_add_u32 s69, s69, 0x1000                                 // 0000000030E0: 8045FF45 00001000
	s_add_u32 s70, s70, 0x8000                                 // 0000000030E8: 8046FF46 00008000
	buffer_load_dwordx4 a[24:27], v229, s[12:15], 0 offen      // 0000000030F0: E05C1000 808318E5
	buffer_load_dwordx4 a[28:31], v230, s[12:15], 0 offen      // 0000000030F8: E05C1000 80831CE6
	buffer_load_dwordx4 a[32:35], v229, s[12:15], 0 offen offset:1024// 000000003100: E05C1400 808320E5
	buffer_load_dwordx4 a[36:39], v230, s[12:15], 0 offen offset:1024// 000000003108: E05C1400 808324E6
	buffer_load_dwordx4 a[40:43], v229, s[12:15], 0 offen offset:2048// 000000003110: E05C1800 808328E5
	buffer_load_dwordx4 a[44:47], v230, s[12:15], 0 offen offset:2048// 000000003118: E05C1800 80832CE6
	buffer_load_dwordx4 a[48:51], v229, s[12:15], 0 offen offset:3072// 000000003120: E05C1C00 808330E5
	buffer_load_dwordx4 a[52:55], v230, s[12:15], 0 offen offset:3072// 000000003128: E05C1C00 808334E6
	buffer_load_dword v154, v235, s[20:23], 0 offen            // 000000003130: E0501000 80059AEB
	buffer_load_dword v156, v236, s[24:27], 0 offen            // 000000003138: E0501000 80069CEC
	buffer_load_dwordx4 a[88:91], v231, s[16:19], 0 offen      // 000000003140: E05C1000 808458E7
	buffer_load_dwordx4 a[92:95], v232, s[16:19], 0 offen      // 000000003148: E05C1000 80845CE8
	buffer_load_dwordx4 a[96:99], v233, s[16:19], 0 offen      // 000000003150: E05C1000 808460E9
	buffer_load_dwordx4 a[100:103], v234, s[16:19], 0 offen    // 000000003158: E05C1000 808464EA
	buffer_load_dwordx4 a[104:107], v231, s[16:19], 0 offen offset:1024// 000000003160: E05C1400 808468E7
	buffer_load_dwordx4 a[108:111], v232, s[16:19], 0 offen offset:1024// 000000003168: E05C1400 80846CE8
	buffer_load_dwordx4 a[112:115], v233, s[16:19], 0 offen offset:1024// 000000003170: E05C1400 808470E9
	buffer_load_dwordx4 a[116:119], v234, s[16:19], 0 offen offset:1024// 000000003178: E05C1400 808474EA
	s_sub_i32 s54, s77, s60                                    // 000000003180: 81B63C4D
	s_mul_i32 s62, s54, 0x400                                  // 000000003184: 923EFF36 00000400
	s_cmp_lt_i32 s62, s61                                      // 00000000318C: BF043D3E
	s_cselect_b32 s62, s62, s61                                // 000000003190: 853E3D3E
	s_sub_i32 s54, s61, s52                                    // 000000003194: 81B6343D
	v_and_b32_e32 v188, 15, v0                                 // 000000003198: 2778008F
	v_add_u32_e32 v189, 16, v188                               // 00000000319C: 697B7890
	v_add_u32_e32 v190, 16, v189                               // 0000000031A0: 697D7A90
	s_cmp_lt_i32 s62, s54                                      // 0000000031A4: BF04363E
	s_cselect_b32 s63, s62, s54                                // 0000000031A8: 853F363E
	s_and_b32 s63, s63, 0xffffff00                             // 0000000031AC: 863FFF3F FFFFFF00
	v_cvt_f32_u32_e32 v204, s53                                // 0000000031B4: 7F980C35
	v_sub_i32 v192, 0, s53                                     // 0000000031B8: D29D00C0 00006A80
	v_rcp_iflag_f32_e32 v204, v204                             // 0000000031C0: 7F9847CC
	s_nop 0                                                    // 0000000031C4: BF800000
	v_mul_f32_e32 v204, 0x4f7ffffe, v204                       // 0000000031C8: 0B9998FF 4F7FFFFE
	v_cvt_u32_f32_e32 v204, v204                               // 0000000031D0: 7F980FCC
	v_mul_lo_u32 v205, v192, v204                              // 0000000031D4: D28500CD 000399C0
	v_mul_hi_u32 v205, v204, v205                              // 0000000031DC: D28600CD 00039BCC
	v_add_u32_e32 v204, v204, v205                             // 0000000031E4: 69999BCC
	v_mul_hi_u32 v204, v188, v204                              // 0000000031E8: D28600CC 000399BC
	v_mul_lo_u32 v205, v204, s53                               // 0000000031F0: D28500CD 00006BCC
	v_sub_u32_e32 v207, v188, v205                             // 0000000031F8: 6B9F9BBC
	v_add_u32_e32 v206, 1, v204                                // 0000000031FC: 699D9881
	v_cmp_le_u32_e32 vcc, s53, v207                            // 000000003200: 7D979E35
	v_subrev_u32_e32 v205, s53, v207                           // 000000003204: 6D9B9E35
	s_nop 0                                                    // 000000003208: BF800000
	v_cndmask_b32_e32 v204, v204, v206, vcc                    // 00000000320C: 01999DCC
	v_cndmask_b32_e32 v207, v207, v205, vcc                    // 000000003210: 019F9BCF
	v_add_u32_e32 v205, 1, v204                                // 000000003214: 699B9881
	v_cmp_le_u32_e32 vcc, s53, v207                            // 000000003218: 7D979E35
	s_nop 1                                                    // 00000000321C: BF800001
	v_cndmask_b32_e32 v192, v204, v205, vcc                    // 000000003220: 01819BCC
	v_add_u32_e32 v218, s54, v192                              // 000000003224: 69B58036
	v_cmp_lt_u32_e32 vcc, s62, v218                            // 000000003228: 7D93B43E
	v_mov_b32_e32 v205, s62                                    // 00000000322C: 7F9A023E
	v_cndmask_b32_e32 v218, v218, v205, vcc                    // 000000003230: 01B59BDA
	v_cvt_f32_u32_e32 v204, s53                                // 000000003234: 7F980C35
	v_sub_i32 v192, 0, s53                                     // 000000003238: D29D00C0 00006A80
	v_rcp_iflag_f32_e32 v204, v204                             // 000000003240: 7F9847CC
	s_nop 0                                                    // 000000003244: BF800000
	v_mul_f32_e32 v204, 0x4f7ffffe, v204                       // 000000003248: 0B9998FF 4F7FFFFE
	v_cvt_u32_f32_e32 v204, v204                               // 000000003250: 7F980FCC
	v_mul_lo_u32 v205, v192, v204                              // 000000003254: D28500CD 000399C0
	v_mul_hi_u32 v205, v204, v205                              // 00000000325C: D28600CD 00039BCC
	v_add_u32_e32 v204, v204, v205                             // 000000003264: 69999BCC
	v_mul_hi_u32 v204, v189, v204                              // 000000003268: D28600CC 000399BD
	v_mul_lo_u32 v205, v204, s53                               // 000000003270: D28500CD 00006BCC
	v_sub_u32_e32 v207, v189, v205                             // 000000003278: 6B9F9BBD
	v_add_u32_e32 v206, 1, v204                                // 00000000327C: 699D9881
	v_cmp_le_u32_e32 vcc, s53, v207                            // 000000003280: 7D979E35
	v_subrev_u32_e32 v205, s53, v207                           // 000000003284: 6D9B9E35
	s_nop 0                                                    // 000000003288: BF800000
	v_cndmask_b32_e32 v204, v204, v206, vcc                    // 00000000328C: 01999DCC
	v_cndmask_b32_e32 v207, v207, v205, vcc                    // 000000003290: 019F9BCF
	v_add_u32_e32 v205, 1, v204                                // 000000003294: 699B9881
	v_cmp_le_u32_e32 vcc, s53, v207                            // 000000003298: 7D979E35
	s_nop 1                                                    // 00000000329C: BF800001
	v_cndmask_b32_e32 v192, v204, v205, vcc                    // 0000000032A0: 01819BCC
	v_add_u32_e32 v219, s54, v192                              // 0000000032A4: 69B78036
	v_cmp_lt_u32_e32 vcc, s62, v219                            // 0000000032A8: 7D93B63E
	v_mov_b32_e32 v205, s62                                    // 0000000032AC: 7F9A023E
	v_cndmask_b32_e32 v219, v219, v205, vcc                    // 0000000032B0: 01B79BDB
	v_cvt_f32_u32_e32 v204, s53                                // 0000000032B4: 7F980C35
	v_sub_i32 v192, 0, s53                                     // 0000000032B8: D29D00C0 00006A80
	v_rcp_iflag_f32_e32 v204, v204                             // 0000000032C0: 7F9847CC
	s_nop 0                                                    // 0000000032C4: BF800000
	v_mul_f32_e32 v204, 0x4f7ffffe, v204                       // 0000000032C8: 0B9998FF 4F7FFFFE
	v_cvt_u32_f32_e32 v204, v204                               // 0000000032D0: 7F980FCC
	v_mul_lo_u32 v205, v192, v204                              // 0000000032D4: D28500CD 000399C0
	v_mul_hi_u32 v205, v204, v205                              // 0000000032DC: D28600CD 00039BCC
	v_add_u32_e32 v204, v204, v205                             // 0000000032E4: 69999BCC
	v_mul_hi_u32 v204, v190, v204                              // 0000000032E8: D28600CC 000399BE
	v_mul_lo_u32 v205, v204, s53                               // 0000000032F0: D28500CD 00006BCC
	v_sub_u32_e32 v207, v190, v205                             // 0000000032F8: 6B9F9BBE
	v_add_u32_e32 v206, 1, v204                                // 0000000032FC: 699D9881
	v_cmp_le_u32_e32 vcc, s53, v207                            // 000000003300: 7D979E35
	v_subrev_u32_e32 v205, s53, v207                           // 000000003304: 6D9B9E35
	s_nop 0                                                    // 000000003308: BF800000
	v_cndmask_b32_e32 v204, v204, v206, vcc                    // 00000000330C: 01999DCC
	v_cndmask_b32_e32 v207, v207, v205, vcc                    // 000000003310: 019F9BCF
	v_add_u32_e32 v205, 1, v204                                // 000000003314: 699B9881
	v_cmp_le_u32_e32 vcc, s53, v207                            // 000000003318: 7D979E35
	s_nop 1                                                    // 00000000331C: BF800001
	v_cndmask_b32_e32 v192, v204, v205, vcc                    // 000000003320: 01819BCC
	v_add_u32_e32 v220, s54, v192                              // 000000003324: 69B98036
	v_cmp_lt_u32_e32 vcc, s62, v220                            // 000000003328: 7D93B83E
	v_mov_b32_e32 v205, s62                                    // 00000000332C: 7F9A023E
	v_cndmask_b32_e32 v220, v220, v205, vcc                    // 000000003330: 01B99BDC
	s_waitcnt vmcnt(18)                                        // 000000003334: BF8C4F72
	v_lshlrev_b32_e32 v16, 16, v4                              // 000000003338: 24200890
	v_and_b32_e32 v17, 0xffff0000, v4                          // 00000000333C: 262208FF FFFF0000
	v_lshlrev_b32_e32 v18, 16, v5                              // 000000003344: 24240A90
	v_and_b32_e32 v19, 0xffff0000, v5                          // 000000003348: 26260AFF FFFF0000
	v_lshlrev_b32_e32 v20, 16, v6                              // 000000003350: 24280C90
	v_and_b32_e32 v21, 0xffff0000, v6                          // 000000003354: 262A0CFF FFFF0000
	v_lshlrev_b32_e32 v22, 16, v7                              // 00000000335C: 242C0E90
	v_and_b32_e32 v23, 0xffff0000, v7                          // 000000003360: 262E0EFF FFFF0000
	v_lshlrev_b32_e32 v24, 16, v8                              // 000000003368: 24301090
	v_and_b32_e32 v25, 0xffff0000, v8                          // 00000000336C: 263210FF FFFF0000
	v_lshlrev_b32_e32 v26, 16, v9                              // 000000003374: 24341290
	v_and_b32_e32 v27, 0xffff0000, v9                          // 000000003378: 263612FF FFFF0000
	v_lshlrev_b32_e32 v28, 16, v10                             // 000000003380: 24381490
	v_and_b32_e32 v29, 0xffff0000, v10                         // 000000003384: 263A14FF FFFF0000
	v_lshlrev_b32_e32 v30, 16, v11                             // 00000000338C: 243C1690
	v_and_b32_e32 v31, 0xffff0000, v11                         // 000000003390: 263E16FF FFFF0000
	v_lshlrev_b32_e32 v32, 16, v12                             // 000000003398: 24401890
	v_and_b32_e32 v33, 0xffff0000, v12                         // 00000000339C: 264218FF FFFF0000
	v_lshlrev_b32_e32 v34, 16, v13                             // 0000000033A4: 24441A90
	v_and_b32_e32 v35, 0xffff0000, v13                         // 0000000033A8: 26461AFF FFFF0000
	v_lshlrev_b32_e32 v36, 16, v14                             // 0000000033B0: 24481C90
	v_and_b32_e32 v37, 0xffff0000, v14                         // 0000000033B4: 264A1CFF FFFF0000
	v_lshlrev_b32_e32 v38, 16, v15                             // 0000000033BC: 244C1E90
	v_and_b32_e32 v39, 0xffff0000, v15                         // 0000000033C0: 264E1EFF FFFF0000
	v_mov_b32_e32 v182, 0x358637bd                             // 0000000033C8: 7F6C02FF 358637BD
	v_max3_f32 v182, |v16|, |v17|, v182                        // 0000000033D0: D1D303B6 06DA2310
	v_max3_f32 v182, |v18|, |v19|, v182                        // 0000000033D8: D1D303B6 06DA2712
	v_max3_f32 v182, |v20|, |v21|, v182                        // 0000000033E0: D1D303B6 06DA2B14
	v_max3_f32 v182, |v22|, |v23|, v182                        // 0000000033E8: D1D303B6 06DA2F16
	v_mov_b32_e32 v183, 0x358637bd                             // 0000000033F0: 7F6E02FF 358637BD
	v_max3_f32 v183, |v24|, |v25|, v183                        // 0000000033F8: D1D303B7 06DE3318
	v_max3_f32 v183, |v26|, |v27|, v183                        // 000000003400: D1D303B7 06DE371A
	v_max3_f32 v183, |v28|, |v29|, v183                        // 000000003408: D1D303B7 06DE3B1C
	v_max3_f32 v183, |v30|, |v31|, v183                        // 000000003410: D1D303B7 06DE3F1E
	v_mov_b32_e32 v184, 0x358637bd                             // 000000003418: 7F7002FF 358637BD
	v_max3_f32 v184, |v32|, |v33|, v184                        // 000000003420: D1D303B8 06E24320
	v_max3_f32 v184, |v34|, |v35|, v184                        // 000000003428: D1D303B8 06E24722
	v_max3_f32 v184, |v36|, |v37|, v184                        // 000000003430: D1D303B8 06E24B24
	v_max3_f32 v184, |v38|, |v39|, v184                        // 000000003438: D1D303B8 06E24F26
	v_max_f32_dpp v182, v182, v182 row_shl:8 row_mask:0xf bank_mask:0xf bound_ctrl:1// 000000003440: 176D6CFA FF0908B6
	v_max_f32_dpp v183, v183, v183 row_shl:8 row_mask:0xf bank_mask:0xf bound_ctrl:1// 000000003448: 176F6EFA FF0908B7
	v_max_f32_dpp v184, v184, v184 row_shl:8 row_mask:0xf bank_mask:0xf bound_ctrl:1// 000000003450: 177170FA FF0908B8
	v_max_f32_dpp v182, v182, v182 row_shl:4 row_mask:0xf bank_mask:0xf bound_ctrl:1// 000000003458: 176D6CFA FF0904B6
	v_max_f32_dpp v183, v183, v183 row_shl:4 row_mask:0xf bank_mask:0xf bound_ctrl:1// 000000003460: 176F6EFA FF0904B7
	v_max_f32_dpp v184, v184, v184 row_shl:4 row_mask:0xf bank_mask:0xf bound_ctrl:1// 000000003468: 177170FA FF0904B8
	v_max_f32_dpp v182, v182, v182 row_shl:2 row_mask:0xf bank_mask:0xf bound_ctrl:1// 000000003470: 176D6CFA FF0902B6
	v_max_f32_dpp v183, v183, v183 row_shl:2 row_mask:0xf bank_mask:0xf bound_ctrl:1// 000000003478: 176F6EFA FF0902B7
	v_max_f32_dpp v184, v184, v184 row_shl:2 row_mask:0xf bank_mask:0xf bound_ctrl:1// 000000003480: 177170FA FF0902B8
	v_max_f32_dpp v182, v182, v182 row_shl:1 row_mask:0xf bank_mask:0xf bound_ctrl:1// 000000003488: 176D6CFA FF0901B6
	v_max_f32_dpp v183, v183, v183 row_shl:1 row_mask:0xf bank_mask:0xf bound_ctrl:1// 000000003490: 176F6EFA FF0901B7
	v_max_f32_dpp v184, v184, v184 row_shl:1 row_mask:0xf bank_mask:0xf bound_ctrl:1// 000000003498: 177170FA FF0901B8
	ds_write_b128 v243, v[182:185] offset:4096                 // 0000000034A0: D9BE1000 0000B6F3
	s_waitcnt lgkmcnt(0)                                       // 0000000034A8: BF8CC07F
	s_barrier                                                  // 0000000034AC: BF8A0000
	ds_read_b128 v[182:185], v245 offset:4096                  // 0000000034B0: D9FE1000 B60000F5
	s_waitcnt lgkmcnt(0)                                       // 0000000034B8: BF8CC07F
	v_rcp_f32_e32 v182, v182                                   // 0000000034BC: 7F6C45B6
	v_rcp_f32_e32 v183, v183                                   // 0000000034C0: 7F6E45B7
	v_rcp_f32_e32 v184, v184                                   // 0000000034C4: 7F7045B8
	v_mul_f32_e32 v182, 0x43700000, v182                       // 0000000034C8: 0B6D6CFF 43700000
	v_mul_f32_e32 v183, 0x43700000, v183                       // 0000000034D0: 0B6F6EFF 43700000
	v_mul_f32_e32 v184, 0x43700000, v184                       // 0000000034D8: 0B7170FF 43700000
	s_lshl_b32 s54, s57, 2                                     // 0000000034E0: 8E368239
	v_lshrrev_b32_e32 v207, 4, v0                              // 0000000034E4: 219E0084
	v_add_u32_e32 v207, s54, v207                              // 0000000034E8: 699F9E36
	v_lshlrev_b32_e32 v207, 2, v207                            // 0000000034EC: 259F9E82
	ds_bpermute_b32 v204, v207, v182                           // 0000000034F0: D87E0000 CC00B6CF
	ds_bpermute_b32 v205, v207, v183                           // 0000000034F8: D87E0000 CD00B7CF
	ds_bpermute_b32 v206, v207, v184                           // 000000003500: D87E0000 CE00B8CF
	v_rcp_f32_e32 v148, v182                                   // 000000003508: 7F2845B6
	v_rcp_f32_e32 v150, v183                                   // 00000000350C: 7F2C45B7
	v_rcp_f32_e32 v152, v184                                   // 000000003510: 7F3045B8
	v_mov_b32_e32 v149, v148                                   // 000000003514: 7F2A0394
	v_mov_b32_e32 v151, v150                                   // 000000003518: 7F2E0396
	v_mov_b32_e32 v153, v152                                   // 00000000351C: 7F320398
	s_waitcnt lgkmcnt(0)                                       // 000000003520: BF8CC07F
	v_mul_f32_e32 v16, v16, v204                               // 000000003524: 0A219910
	v_mul_f32_e32 v17, v17, v204                               // 000000003528: 0A239911
	v_mul_f32_e32 v18, v18, v204                               // 00000000352C: 0A259912
	v_mul_f32_e32 v19, v19, v204                               // 000000003530: 0A279913
	v_mul_f32_e32 v20, v20, v204                               // 000000003534: 0A299914
	v_mul_f32_e32 v21, v21, v204                               // 000000003538: 0A2B9915
	v_mul_f32_e32 v22, v22, v204                               // 00000000353C: 0A2D9916
	v_mul_f32_e32 v23, v23, v204                               // 000000003540: 0A2F9917
	v_mul_f32_e32 v24, v24, v205                               // 000000003544: 0A319B18
	v_mul_f32_e32 v25, v25, v205                               // 000000003548: 0A339B19
	v_mul_f32_e32 v26, v26, v205                               // 00000000354C: 0A359B1A
	v_mul_f32_e32 v27, v27, v205                               // 000000003550: 0A379B1B
	v_mul_f32_e32 v28, v28, v205                               // 000000003554: 0A399B1C
	v_mul_f32_e32 v29, v29, v205                               // 000000003558: 0A3B9B1D
	v_mul_f32_e32 v30, v30, v205                               // 00000000355C: 0A3D9B1E
	v_mul_f32_e32 v31, v31, v205                               // 000000003560: 0A3F9B1F
	v_mul_f32_e32 v32, v32, v206                               // 000000003564: 0A419D20
	v_mul_f32_e32 v33, v33, v206                               // 000000003568: 0A439D21
	v_mul_f32_e32 v34, v34, v206                               // 00000000356C: 0A459D22
	v_mul_f32_e32 v35, v35, v206                               // 000000003570: 0A479D23
	v_mul_f32_e32 v36, v36, v206                               // 000000003574: 0A499D24
	v_mul_f32_e32 v37, v37, v206                               // 000000003578: 0A4B9D25
	v_mul_f32_e32 v38, v38, v206                               // 00000000357C: 0A4D9D26
	v_mul_f32_e32 v39, v39, v206                               // 000000003580: 0A4F9D27
	v_cvt_pk_fp8_f32 v16, v16, v17                             // 000000003584: D2A20010 00022310
	v_cvt_pk_fp8_f32 v16, v18, v19 op_sel:[0,0,1]              // 00000000358C: D2A24010 00022712
	v_cvt_pk_fp8_f32 v17, v20, v21                             // 000000003594: D2A20011 00022B14
	v_cvt_pk_fp8_f32 v17, v22, v23 op_sel:[0,0,1]              // 00000000359C: D2A24011 00022F16
	v_cvt_pk_fp8_f32 v18, v24, v25                             // 0000000035A4: D2A20012 00023318
	v_cvt_pk_fp8_f32 v18, v26, v27 op_sel:[0,0,1]              // 0000000035AC: D2A24012 0002371A
	v_cvt_pk_fp8_f32 v19, v28, v29                             // 0000000035B4: D2A20013 00023B1C
	v_cvt_pk_fp8_f32 v19, v30, v31 op_sel:[0,0,1]              // 0000000035BC: D2A24013 00023F1E
	v_cvt_pk_fp8_f32 v20, v32, v33                             // 0000000035C4: D2A20014 00024320
	v_cvt_pk_fp8_f32 v20, v34, v35 op_sel:[0,0,1]              // 0000000035CC: D2A24014 00024722
	v_cvt_pk_fp8_f32 v21, v36, v37                             // 0000000035D4: D2A20015 00024B24
	v_cvt_pk_fp8_f32 v21, v38, v39 op_sel:[0,0,1]              // 0000000035DC: D2A24015 00024F26
	ds_write_b64 v244, v[16:17] offset:8192                    // 0000000035E4: D89A2000 000010F4
	ds_write_b64 v244, v[18:19] offset:10496                   // 0000000035EC: D89A2900 000012F4
	ds_write_b64 v244, v[20:21] offset:12800                   // 0000000035F4: D89A3200 000014F4
	s_waitcnt lgkmcnt(0)                                       // 0000000035FC: BF8CC07F
	s_barrier                                                  // 000000003600: BF8A0000
	ds_read_b128 a[0:3], v246 offset:8192                      // 000000003604: DBFE2000 000000F6
	ds_read_b128 a[4:7], v246 offset:8256                      // 00000000360C: DBFE2040 040000F6
	ds_read_b128 a[8:11], v246 offset:10496                    // 000000003614: DBFE2900 080000F6
	ds_read_b128 a[12:15], v246 offset:10560                   // 00000000361C: DBFE2940 0C0000F6
	ds_read_b128 a[16:19], v246 offset:12800                   // 000000003624: DBFE3200 100000F6
	ds_read_b128 a[20:23], v246 offset:12864                   // 00000000362C: DBFE3240 140000F6
	s_waitcnt lgkmcnt(0)                                       // 000000003634: BF8CC07F
	s_cmp_lt_i32 s57, 2                                        // 000000003638: BF048239
	s_cbranch_scc0 label_1496                                  // 00000000363C: BF841086

0000000000003640 <label_0410>:
	s_cmp_lt_i32 s64, s63                                      // 000000003640: BF043F40
	s_cbranch_scc0 label_251C                                  // 000000003644: BF84210A
	s_waitcnt vmcnt(10)                                        // 000000003648: BF8C0F7A
	v_mfma_f32_16x16x32_fp8_fp8 v[4:7], a[24:25], a[0:1], 0    // 00000000364C: D3F30004 1A020118
	s_add_u32 s12, s86, s69                                    // 000000003654: 800C4556
	s_addc_u32 s13, s87, 0                                     // 000000003658: 820D8057
	v_mfma_f32_16x16x32_fp8_fp8 v[4:7], a[26:27], a[2:3], v[4:7]// 00000000365C: D3F30004 1C12051A
	s_add_u32 s16, s88, s70                                    // 000000003664: 80104658
	s_addc_u32 s17, s89, 0                                     // 000000003668: 82118059
	v_mfma_f32_16x16x32_fp8_fp8 v[4:7], a[28:29], a[4:5], v[4:7]// 00000000366C: D3F30004 1C12091C
	buffer_load_dwordx4 a[56:59], v229, s[12:15], 0 offen      // 000000003674: E05C1000 808338E5
	v_mfma_f32_16x16x32_fp8_fp8 v[4:7], a[30:31], a[6:7], v[4:7]// 00000000367C: D3F30004 1C120D1E
	s_add_u32 s20, s90, s71                                    // 000000003684: 8014475A
	s_addc_u32 s21, s91, 0                                     // 000000003688: 8215805B
	v_mfma_f32_16x16x32_fp8_fp8 v[8:11], a[32:33], a[0:1], 0   // 00000000368C: D3F30008 1A020120
	s_add_u32 s24, s92, s71                                    // 000000003694: 8018475C
	s_addc_u32 s25, s93, 0                                     // 000000003698: 8219805D
	v_mfma_f32_16x16x32_fp8_fp8 v[8:11], a[34:35], a[2:3], v[8:11]// 00000000369C: D3F30008 1C220522
	s_add_u32 s69, s69, 0x1000                                 // 0000000036A4: 8045FF45 00001000
	s_add_u32 s70, s70, 0x8000                                 // 0000000036AC: 8046FF46 00008000
	v_mfma_f32_16x16x32_fp8_fp8 v[8:11], a[36:37], a[4:5], v[8:11]// 0000000036B4: D3F30008 1C220924
	buffer_load_dwordx4 a[60:63], v230, s[12:15], 0 offen      // 0000000036BC: E05C1000 80833CE6
	v_mfma_f32_16x16x32_fp8_fp8 v[8:11], a[38:39], a[6:7], v[8:11]// 0000000036C4: D3F30008 1C220D26
	v_mfma_f32_16x16x32_fp8_fp8 v[12:15], a[40:41], a[0:1], 0  // 0000000036CC: D3F3000C 1A020128
	v_mfma_f32_16x16x32_fp8_fp8 v[12:15], a[42:43], a[2:3], v[12:15]// 0000000036D4: D3F3000C 1C32052A
	v_mfma_f32_16x16x32_fp8_fp8 v[12:15], a[44:45], a[4:5], v[12:15]// 0000000036DC: D3F3000C 1C32092C
	buffer_load_dwordx4 a[64:67], v229, s[12:15], 0 offen offset:1024// 0000000036E4: E05C1400 808340E5
	v_mfma_f32_16x16x32_fp8_fp8 v[12:15], a[46:47], a[6:7], v[12:15]// 0000000036EC: D3F3000C 1C320D2E
	v_mfma_f32_16x16x32_fp8_fp8 v[16:19], a[48:49], a[0:1], 0  // 0000000036F4: D3F30010 1A020130
	v_mfma_f32_16x16x32_fp8_fp8 v[16:19], a[50:51], a[2:3], v[16:19]// 0000000036FC: D3F30010 1C420532
	v_mfma_f32_16x16x32_fp8_fp8 v[16:19], a[52:53], a[4:5], v[16:19]// 000000003704: D3F30010 1C420934
	buffer_load_dwordx4 a[68:71], v230, s[12:15], 0 offen offset:1024// 00000000370C: E05C1400 808344E6
	v_mfma_f32_16x16x32_fp8_fp8 v[16:19], a[54:55], a[6:7], v[16:19]// 000000003714: D3F30010 1C420D36
	v_mfma_f32_16x16x32_fp8_fp8 v[20:23], a[24:25], a[8:9], 0  // 00000000371C: D3F30014 1A021118
	v_mfma_f32_16x16x32_fp8_fp8 v[20:23], a[26:27], a[10:11], v[20:23]// 000000003724: D3F30014 1C52151A
	v_mfma_f32_16x16x32_fp8_fp8 v[20:23], a[28:29], a[12:13], v[20:23]// 00000000372C: D3F30014 1C52191C
	buffer_load_dwordx4 a[72:75], v229, s[12:15], 0 offen offset:2048// 000000003734: E05C1800 808348E5
	v_mfma_f32_16x16x32_fp8_fp8 v[20:23], a[30:31], a[14:15], v[20:23]// 00000000373C: D3F30014 1C521D1E
	v_mfma_f32_16x16x32_fp8_fp8 v[24:27], a[32:33], a[8:9], 0  // 000000003744: D3F30018 1A021120
	v_mfma_f32_16x16x32_fp8_fp8 v[24:27], a[34:35], a[10:11], v[24:27]// 00000000374C: D3F30018 1C621522
	v_mfma_f32_16x16x32_fp8_fp8 v[24:27], a[36:37], a[12:13], v[24:27]// 000000003754: D3F30018 1C621924
	buffer_load_dwordx4 a[76:79], v230, s[12:15], 0 offen offset:2048// 00000000375C: E05C1800 80834CE6
	v_mfma_f32_16x16x32_fp8_fp8 v[24:27], a[38:39], a[14:15], v[24:27]// 000000003764: D3F30018 1C621D26
	v_mfma_f32_16x16x32_fp8_fp8 v[28:31], a[40:41], a[8:9], 0  // 00000000376C: D3F3001C 1A021128
	v_mfma_f32_16x16x32_fp8_fp8 v[28:31], a[42:43], a[10:11], v[28:31]// 000000003774: D3F3001C 1C72152A
	v_mfma_f32_16x16x32_fp8_fp8 v[28:31], a[44:45], a[12:13], v[28:31]// 00000000377C: D3F3001C 1C72192C
	buffer_load_dwordx4 a[80:83], v229, s[12:15], 0 offen offset:3072// 000000003784: E05C1C00 808350E5
	v_mfma_f32_16x16x32_fp8_fp8 v[28:31], a[46:47], a[14:15], v[28:31]// 00000000378C: D3F3001C 1C721D2E
	v_mfma_f32_16x16x32_fp8_fp8 v[32:35], a[48:49], a[8:9], 0  // 000000003794: D3F30020 1A021130
	v_mfma_f32_16x16x32_fp8_fp8 v[32:35], a[50:51], a[10:11], v[32:35]// 00000000379C: D3F30020 1C821532
	v_mfma_f32_16x16x32_fp8_fp8 v[32:35], a[52:53], a[12:13], v[32:35]// 0000000037A4: D3F30020 1C821934
	buffer_load_dwordx4 a[84:87], v230, s[12:15], 0 offen offset:3072// 0000000037AC: E05C1C00 808354E6
	v_mfma_f32_16x16x32_fp8_fp8 v[32:35], a[54:55], a[14:15], v[32:35]// 0000000037B4: D3F30020 1C821D36
	v_mfma_f32_16x16x32_fp8_fp8 v[36:39], a[24:25], a[16:17], 0// 0000000037BC: D3F30024 1A022118
	v_mfma_f32_16x16x32_fp8_fp8 v[36:39], a[26:27], a[18:19], v[36:39]// 0000000037C4: D3F30024 1C92251A
	v_mfma_f32_16x16x32_fp8_fp8 v[36:39], a[28:29], a[20:21], v[36:39]// 0000000037CC: D3F30024 1C92291C
	v_mfma_f32_16x16x32_fp8_fp8 v[36:39], a[30:31], a[22:23], v[36:39]// 0000000037D4: D3F30024 1C922D1E
	v_mfma_f32_16x16x32_fp8_fp8 v[40:43], a[32:33], a[16:17], 0// 0000000037DC: D3F30028 1A022120
	v_mfma_f32_16x16x32_fp8_fp8 v[40:43], a[34:35], a[18:19], v[40:43]// 0000000037E4: D3F30028 1CA22522
	v_mfma_f32_16x16x32_fp8_fp8 v[40:43], a[36:37], a[20:21], v[40:43]// 0000000037EC: D3F30028 1CA22924
	v_mfma_f32_16x16x32_fp8_fp8 v[40:43], a[38:39], a[22:23], v[40:43]// 0000000037F4: D3F30028 1CA22D26
	v_mfma_f32_16x16x32_fp8_fp8 v[44:47], a[40:41], a[16:17], 0// 0000000037FC: D3F3002C 1A022128
	v_mfma_f32_16x16x32_fp8_fp8 v[44:47], a[42:43], a[18:19], v[44:47]// 000000003804: D3F3002C 1CB2252A
	v_mfma_f32_16x16x32_fp8_fp8 v[44:47], a[44:45], a[20:21], v[44:47]// 00000000380C: D3F3002C 1CB2292C
	v_mfma_f32_16x16x32_fp8_fp8 v[44:47], a[46:47], a[22:23], v[44:47]// 000000003814: D3F3002C 1CB22D2E
	v_mfma_f32_16x16x32_fp8_fp8 v[48:51], a[48:49], a[16:17], 0// 00000000381C: D3F30030 1A022130
	v_mfma_f32_16x16x32_fp8_fp8 v[48:51], a[50:51], a[18:19], v[48:51]// 000000003824: D3F30030 1CC22532
	v_mfma_f32_16x16x32_fp8_fp8 v[48:51], a[52:53], a[20:21], v[48:51]// 00000000382C: D3F30030 1CC22934
	v_mfma_f32_16x16x32_fp8_fp8 v[48:51], a[54:55], a[22:23], v[48:51]// 000000003834: D3F30030 1CC22D36
	s_waitcnt vmcnt(16)                                        // 00000000383C: BF8C4F70
	v_pk_mul_f32 v[4:5], v[148:149], v[4:5]                    // 000000003840: D3B14004 18020994
	v_pk_mul_f32 v[6:7], v[148:149], v[6:7]                    // 000000003848: D3B14006 18020D94
	v_mul_f32_dpp v4, v154, v4 row_newbcast:0 row_mask:0xf bank_mask:0xf// 000000003850: 0A0808FA FF01509A
	v_mul_f32_dpp v5, v154, v5 row_newbcast:1 row_mask:0xf bank_mask:0xf// 000000003858: 0A0A0AFA FF01519A
	v_mul_f32_dpp v6, v154, v6 row_newbcast:2 row_mask:0xf bank_mask:0xf// 000000003860: 0A0C0CFA FF01529A
	v_mul_f32_dpp v7, v154, v7 row_newbcast:3 row_mask:0xf bank_mask:0xf// 000000003868: 0A0E0EFA FF01539A
	v_pk_mul_f32 v[8:9], v[148:149], v[8:9]                    // 000000003870: D3B14008 18021194
	v_pk_mul_f32 v[10:11], v[148:149], v[10:11]                // 000000003878: D3B1400A 18021594
	v_mul_f32_dpp v8, v154, v8 row_newbcast:4 row_mask:0xf bank_mask:0xf// 000000003880: 0A1010FA FF01549A
	v_mul_f32_dpp v9, v154, v9 row_newbcast:5 row_mask:0xf bank_mask:0xf// 000000003888: 0A1212FA FF01559A
	v_mul_f32_dpp v10, v154, v10 row_newbcast:6 row_mask:0xf bank_mask:0xf// 000000003890: 0A1414FA FF01569A
	v_mul_f32_dpp v11, v154, v11 row_newbcast:7 row_mask:0xf bank_mask:0xf// 000000003898: 0A1616FA FF01579A
	v_pk_mul_f32 v[12:13], v[148:149], v[12:13]                // 0000000038A0: D3B1400C 18021994
	v_pk_mul_f32 v[14:15], v[148:149], v[14:15]                // 0000000038A8: D3B1400E 18021D94
	v_mul_f32_dpp v12, v154, v12 row_newbcast:8 row_mask:0xf bank_mask:0xf// 0000000038B0: 0A1818FA FF01589A
	v_mul_f32_dpp v13, v154, v13 row_newbcast:9 row_mask:0xf bank_mask:0xf// 0000000038B8: 0A1A1AFA FF01599A
	v_mul_f32_dpp v14, v154, v14 row_newbcast:10 row_mask:0xf bank_mask:0xf// 0000000038C0: 0A1C1CFA FF015A9A
	v_mul_f32_dpp v15, v154, v15 row_newbcast:11 row_mask:0xf bank_mask:0xf// 0000000038C8: 0A1E1EFA FF015B9A
	v_pk_mul_f32 v[16:17], v[148:149], v[16:17]                // 0000000038D0: D3B14010 18022194
	v_pk_mul_f32 v[18:19], v[148:149], v[18:19]                // 0000000038D8: D3B14012 18022594
	v_mul_f32_dpp v16, v154, v16 row_newbcast:12 row_mask:0xf bank_mask:0xf// 0000000038E0: 0A2020FA FF015C9A
	v_mul_f32_dpp v17, v154, v17 row_newbcast:13 row_mask:0xf bank_mask:0xf// 0000000038E8: 0A2222FA FF015D9A
	v_mul_f32_dpp v18, v154, v18 row_newbcast:14 row_mask:0xf bank_mask:0xf// 0000000038F0: 0A2424FA FF015E9A
	v_mul_f32_dpp v19, v154, v19 row_newbcast:15 row_mask:0xf bank_mask:0xf// 0000000038F8: 0A2626FA FF015F9A
	v_pk_mul_f32 v[20:21], v[150:151], v[20:21]                // 000000003900: D3B14014 18022996
	v_pk_mul_f32 v[22:23], v[150:151], v[22:23]                // 000000003908: D3B14016 18022D96
	v_mul_f32_dpp v20, v154, v20 row_newbcast:0 row_mask:0xf bank_mask:0xf// 000000003910: 0A2828FA FF01509A
	v_mul_f32_dpp v21, v154, v21 row_newbcast:1 row_mask:0xf bank_mask:0xf// 000000003918: 0A2A2AFA FF01519A
	v_mul_f32_dpp v22, v154, v22 row_newbcast:2 row_mask:0xf bank_mask:0xf// 000000003920: 0A2C2CFA FF01529A
	v_mul_f32_dpp v23, v154, v23 row_newbcast:3 row_mask:0xf bank_mask:0xf// 000000003928: 0A2E2EFA FF01539A
	v_pk_mul_f32 v[24:25], v[150:151], v[24:25]                // 000000003930: D3B14018 18023196
	v_pk_mul_f32 v[26:27], v[150:151], v[26:27]                // 000000003938: D3B1401A 18023596
	v_mul_f32_dpp v24, v154, v24 row_newbcast:4 row_mask:0xf bank_mask:0xf// 000000003940: 0A3030FA FF01549A
	v_mul_f32_dpp v25, v154, v25 row_newbcast:5 row_mask:0xf bank_mask:0xf// 000000003948: 0A3232FA FF01559A
	v_mul_f32_dpp v26, v154, v26 row_newbcast:6 row_mask:0xf bank_mask:0xf// 000000003950: 0A3434FA FF01569A
	v_mul_f32_dpp v27, v154, v27 row_newbcast:7 row_mask:0xf bank_mask:0xf// 000000003958: 0A3636FA FF01579A
	v_pk_mul_f32 v[28:29], v[150:151], v[28:29]                // 000000003960: D3B1401C 18023996
	v_pk_mul_f32 v[30:31], v[150:151], v[30:31]                // 000000003968: D3B1401E 18023D96
	v_mul_f32_dpp v28, v154, v28 row_newbcast:8 row_mask:0xf bank_mask:0xf// 000000003970: 0A3838FA FF01589A
	v_mul_f32_dpp v29, v154, v29 row_newbcast:9 row_mask:0xf bank_mask:0xf// 000000003978: 0A3A3AFA FF01599A
	v_mul_f32_dpp v30, v154, v30 row_newbcast:10 row_mask:0xf bank_mask:0xf// 000000003980: 0A3C3CFA FF015A9A
	v_mul_f32_dpp v31, v154, v31 row_newbcast:11 row_mask:0xf bank_mask:0xf// 000000003988: 0A3E3EFA FF015B9A
	v_pk_mul_f32 v[32:33], v[150:151], v[32:33]                // 000000003990: D3B14020 18024196
	v_pk_mul_f32 v[34:35], v[150:151], v[34:35]                // 000000003998: D3B14022 18024596
	v_mul_f32_dpp v32, v154, v32 row_newbcast:12 row_mask:0xf bank_mask:0xf// 0000000039A0: 0A4040FA FF015C9A
	v_mul_f32_dpp v33, v154, v33 row_newbcast:13 row_mask:0xf bank_mask:0xf// 0000000039A8: 0A4242FA FF015D9A
	v_mul_f32_dpp v34, v154, v34 row_newbcast:14 row_mask:0xf bank_mask:0xf// 0000000039B0: 0A4444FA FF015E9A
	v_mul_f32_dpp v35, v154, v35 row_newbcast:15 row_mask:0xf bank_mask:0xf// 0000000039B8: 0A4646FA FF015F9A
	v_pk_mul_f32 v[36:37], v[152:153], v[36:37]                // 0000000039C0: D3B14024 18024998
	v_pk_mul_f32 v[38:39], v[152:153], v[38:39]                // 0000000039C8: D3B14026 18024D98
	v_mul_f32_dpp v36, v154, v36 row_newbcast:0 row_mask:0xf bank_mask:0xf// 0000000039D0: 0A4848FA FF01509A
	v_mul_f32_dpp v37, v154, v37 row_newbcast:1 row_mask:0xf bank_mask:0xf// 0000000039D8: 0A4A4AFA FF01519A
	v_mul_f32_dpp v38, v154, v38 row_newbcast:2 row_mask:0xf bank_mask:0xf// 0000000039E0: 0A4C4CFA FF01529A
	v_mul_f32_dpp v39, v154, v39 row_newbcast:3 row_mask:0xf bank_mask:0xf// 0000000039E8: 0A4E4EFA FF01539A
	v_pk_mul_f32 v[40:41], v[152:153], v[40:41]                // 0000000039F0: D3B14028 18025198
	v_pk_mul_f32 v[42:43], v[152:153], v[42:43]                // 0000000039F8: D3B1402A 18025598
	v_mul_f32_dpp v40, v154, v40 row_newbcast:4 row_mask:0xf bank_mask:0xf// 000000003A00: 0A5050FA FF01549A
	v_mul_f32_dpp v41, v154, v41 row_newbcast:5 row_mask:0xf bank_mask:0xf// 000000003A08: 0A5252FA FF01559A
	v_mul_f32_dpp v42, v154, v42 row_newbcast:6 row_mask:0xf bank_mask:0xf// 000000003A10: 0A5454FA FF01569A
	v_mul_f32_dpp v43, v154, v43 row_newbcast:7 row_mask:0xf bank_mask:0xf// 000000003A18: 0A5656FA FF01579A
	v_pk_mul_f32 v[44:45], v[152:153], v[44:45]                // 000000003A20: D3B1402C 18025998
	v_pk_mul_f32 v[46:47], v[152:153], v[46:47]                // 000000003A28: D3B1402E 18025D98
	v_mul_f32_dpp v44, v154, v44 row_newbcast:8 row_mask:0xf bank_mask:0xf// 000000003A30: 0A5858FA FF01589A
	v_mul_f32_dpp v45, v154, v45 row_newbcast:9 row_mask:0xf bank_mask:0xf// 000000003A38: 0A5A5AFA FF01599A
	v_mul_f32_dpp v46, v154, v46 row_newbcast:10 row_mask:0xf bank_mask:0xf// 000000003A40: 0A5C5CFA FF015A9A
	v_mul_f32_dpp v47, v154, v47 row_newbcast:11 row_mask:0xf bank_mask:0xf// 000000003A48: 0A5E5EFA FF015B9A
	v_pk_mul_f32 v[48:49], v[152:153], v[48:49]                // 000000003A50: D3B14030 18026198
	v_pk_mul_f32 v[50:51], v[152:153], v[50:51]                // 000000003A58: D3B14032 18026598
	v_mul_f32_dpp v48, v154, v48 row_newbcast:12 row_mask:0xf bank_mask:0xf// 000000003A60: 0A6060FA FF015C9A
	v_mul_f32_dpp v49, v154, v49 row_newbcast:13 row_mask:0xf bank_mask:0xf// 000000003A68: 0A6262FA FF015D9A
	v_mul_f32_dpp v50, v154, v50 row_newbcast:14 row_mask:0xf bank_mask:0xf// 000000003A70: 0A6464FA FF015E9A
	v_mul_f32_dpp v51, v154, v51 row_newbcast:15 row_mask:0xf bank_mask:0xf// 000000003A78: 0A6666FA FF015F9A
	v_mov_b32_e32 v182, v4                                     // 000000003A80: 7F6C0304
	v_max3_f32 v182, v4, v5, v182                              // 000000003A84: D1D300B6 06DA0B04
	v_max3_f32 v182, v6, v7, v182                              // 000000003A8C: D1D300B6 06DA0F06
	v_max3_f32 v182, v8, v9, v182                              // 000000003A94: D1D300B6 06DA1308
	v_max3_f32 v182, v10, v11, v182                            // 000000003A9C: D1D300B6 06DA170A
	v_max3_f32 v182, v12, v13, v182                            // 000000003AA4: D1D300B6 06DA1B0C
	v_max3_f32 v182, v14, v15, v182                            // 000000003AAC: D1D300B6 06DA1F0E
	v_max3_f32 v182, v16, v17, v182                            // 000000003AB4: D1D300B6 06DA2310
	v_max3_f32 v182, v18, v19, v182                            // 000000003ABC: D1D300B6 06DA2712
	v_mov_b32_e32 v183, v20                                    // 000000003AC4: 7F6E0314
	v_max3_f32 v183, v20, v21, v183                            // 000000003AC8: D1D300B7 06DE2B14
	v_max3_f32 v183, v22, v23, v183                            // 000000003AD0: D1D300B7 06DE2F16
	v_max3_f32 v183, v24, v25, v183                            // 000000003AD8: D1D300B7 06DE3318
	v_max3_f32 v183, v26, v27, v183                            // 000000003AE0: D1D300B7 06DE371A
	v_max3_f32 v183, v28, v29, v183                            // 000000003AE8: D1D300B7 06DE3B1C
	v_max3_f32 v183, v30, v31, v183                            // 000000003AF0: D1D300B7 06DE3F1E
	v_max3_f32 v183, v32, v33, v183                            // 000000003AF8: D1D300B7 06DE4320
	v_max3_f32 v183, v34, v35, v183                            // 000000003B00: D1D300B7 06DE4722
	v_mov_b32_e32 v184, v36                                    // 000000003B08: 7F700324
	v_max3_f32 v184, v36, v37, v184                            // 000000003B0C: D1D300B8 06E24B24
	v_max3_f32 v184, v38, v39, v184                            // 000000003B14: D1D300B8 06E24F26
	v_max3_f32 v184, v40, v41, v184                            // 000000003B1C: D1D300B8 06E25328
	v_max3_f32 v184, v42, v43, v184                            // 000000003B24: D1D300B8 06E2572A
	v_max3_f32 v184, v44, v45, v184                            // 000000003B2C: D1D300B8 06E25B2C
	v_max3_f32 v184, v46, v47, v184                            // 000000003B34: D1D300B8 06E25F2E
	v_max3_f32 v184, v48, v49, v184                            // 000000003B3C: D1D300B8 06E26330
	v_max3_f32 v184, v50, v51, v184                            // 000000003B44: D1D300B8 06E26732
	ds_bpermute_b32 v188, v208, v182                           // 000000003B4C: D87E0000 BC00B6D0
	ds_bpermute_b32 v189, v209, v182                           // 000000003B54: D87E0000 BD00B6D1
	ds_bpermute_b32 v190, v210, v182                           // 000000003B5C: D87E0000 BE00B6D2
	ds_bpermute_b32 v191, v208, v183                           // 000000003B64: D87E0000 BF00B7D0
	ds_bpermute_b32 v192, v209, v183                           // 000000003B6C: D87E0000 C000B7D1
	ds_bpermute_b32 v193, v210, v183                           // 000000003B74: D87E0000 C100B7D2
	ds_bpermute_b32 v194, v208, v184                           // 000000003B7C: D87E0000 C200B8D0
	ds_bpermute_b32 v195, v209, v184                           // 000000003B84: D87E0000 C300B8D1
	ds_bpermute_b32 v196, v210, v184                           // 000000003B8C: D87E0000 C400B8D2
	v_pk_mul_f32 v[124:125], v[170:171], v[124:125]            // 000000003B94: D3B1407C 1802F9AA
	v_pk_mul_f32 v[126:127], v[170:171], v[126:127]            // 000000003B9C: D3B1407E 1802FDAA
	v_pk_mul_f32 v[128:129], v[170:171], v[128:129]            // 000000003BA4: D3B14080 180301AA
	v_pk_mul_f32 v[130:131], v[170:171], v[130:131]            // 000000003BAC: D3B14082 180305AA
	v_pk_mul_f32 v[132:133], v[172:173], v[132:133]            // 000000003BB4: D3B14084 180309AC
	v_pk_mul_f32 v[134:135], v[172:173], v[134:135]            // 000000003BBC: D3B14086 18030DAC
	v_pk_mul_f32 v[136:137], v[172:173], v[136:137]            // 000000003BC4: D3B14088 180311AC
	v_pk_mul_f32 v[138:139], v[172:173], v[138:139]            // 000000003BCC: D3B1408A 180315AC
	v_pk_mul_f32 v[140:141], v[174:175], v[140:141]            // 000000003BD4: D3B1408C 180319AE
	v_pk_mul_f32 v[142:143], v[174:175], v[142:143]            // 000000003BDC: D3B1408E 18031DAE
	v_pk_mul_f32 v[144:145], v[174:175], v[144:145]            // 000000003BE4: D3B14090 180321AE
	v_pk_mul_f32 v[146:147], v[174:175], v[146:147]            // 000000003BEC: D3B14092 180325AE
	s_waitcnt lgkmcnt(6)                                       // 000000003BF4: BF8CC67F
	v_max3_f32 v182, v188, v189, v182                          // 000000003BF8: D1D300B6 06DB7BBC
	v_max_f32_e32 v182, v190, v182                             // 000000003C00: 176D6DBE
	s_waitcnt lgkmcnt(3)                                       // 000000003C04: BF8CC37F
	v_max3_f32 v183, v191, v192, v183                          // 000000003C08: D1D300B7 06DF81BF
	v_max_f32_e32 v183, v193, v183                             // 000000003C10: 176F6FC1
	s_waitcnt lgkmcnt(0)                                       // 000000003C14: BF8CC07F
	v_max3_f32 v184, v194, v195, v184                          // 000000003C18: D1D300B8 06E387C2
	v_max_f32_e32 v184, v196, v184                             // 000000003C20: 177171C4
	ds_write_b128 v249, v[182:185]                             // 000000003C24: D9BE0000 0000B6F9
	s_waitcnt lgkmcnt(0)                                       // 000000003C2C: BF8CC07F
	s_barrier                                                  // 000000003C30: BF8A0000
	ds_read_b128 v[188:191], v250                              // 000000003C34: D9FE0000 BC0000FA
	ds_read_b128 v[192:195], v250 offset:256                   // 000000003C3C: D9FE0100 C00000FA
	ds_read_b128 v[196:199], v250 offset:512                   // 000000003C44: D9FE0200 C40000FA
	ds_read_b128 v[200:203], v250 offset:768                   // 000000003C4C: D9FE0300 C80000FA
	v_pk_mul_f32 v[100:101], v[158:159], v[100:101]            // 000000003C54: D3B14064 1802C99E
	v_pk_mul_f32 v[102:103], v[158:159], v[102:103]            // 000000003C5C: D3B14066 1802CD9E
	v_pk_mul_f32 v[104:105], v[158:159], v[104:105]            // 000000003C64: D3B14068 1802D19E
	v_pk_mul_f32 v[106:107], v[158:159], v[106:107]            // 000000003C6C: D3B1406A 1802D59E
	v_pk_mul_f32 v[108:109], v[160:161], v[108:109]            // 000000003C74: D3B1406C 1802D9A0
	v_pk_mul_f32 v[110:111], v[160:161], v[110:111]            // 000000003C7C: D3B1406E 1802DDA0
	v_pk_mul_f32 v[112:113], v[160:161], v[112:113]            // 000000003C84: D3B14070 1802E1A0
	v_pk_mul_f32 v[114:115], v[160:161], v[114:115]            // 000000003C8C: D3B14072 1802E5A0
	v_pk_mul_f32 v[116:117], v[162:163], v[116:117]            // 000000003C94: D3B14074 1802E9A2
	v_pk_mul_f32 v[118:119], v[162:163], v[118:119]            // 000000003C9C: D3B14076 1802EDA2
	v_pk_mul_f32 v[120:121], v[162:163], v[120:121]            // 000000003CA4: D3B14078 1802F1A2
	v_pk_mul_f32 v[122:123], v[162:163], v[122:123]            // 000000003CAC: D3B1407A 1802F5A2
	s_waitcnt lgkmcnt(0)                                       // 000000003CB4: BF8CC07F
	v_max3_f32 v182, v188, v192, v182                          // 000000003CB8: D1D300B6 06DB81BC
	v_max3_f32 v183, v189, v193, v183                          // 000000003CC0: D1D300B7 06DF83BD
	v_max3_f32 v184, v190, v194, v184                          // 000000003CC8: D1D300B8 06E385BE
	v_max3_f32 v182, v196, v200, v182                          // 000000003CD0: D1D300B6 06DB91C4
	v_max3_f32 v183, v197, v201, v183                          // 000000003CD8: D1D300B7 06DF93C5
	v_max3_f32 v184, v198, v202, v184                          // 000000003CE0: D1D300B8 06E395C6
	v_max_f32_e32 v167, v182, v164                             // 000000003CE8: 174F49B6
	v_mul_f32_e64 v204, -s46, v167                             // 000000003CEC: D10500CC 20034E2E
	v_mov_b32_e32 v205, v204                                   // 000000003CF4: 7F9A03CC
	v_pk_fma_f32 v[4:5], v[4:5], s[46:47], v[204:205]          // 000000003CF8: D3B04004 1F305D04
	v_pk_fma_f32 v[6:7], v[6:7], s[46:47], v[204:205]          // 000000003D00: D3B04006 1F305D06
	v_exp_f32_e32 v4, v4                                       // 000000003D08: 7E084104
	v_exp_f32_e32 v5, v5                                       // 000000003D0C: 7E0A4105
	v_exp_f32_e32 v6, v6                                       // 000000003D10: 7E0C4106
	v_exp_f32_e32 v7, v7                                       // 000000003D14: 7E0E4107
	v_pk_fma_f32 v[8:9], v[8:9], s[46:47], v[204:205]          // 000000003D18: D3B04008 1F305D08
	v_pk_fma_f32 v[10:11], v[10:11], s[46:47], v[204:205]      // 000000003D20: D3B0400A 1F305D0A
	v_exp_f32_e32 v8, v8                                       // 000000003D28: 7E104108
	v_exp_f32_e32 v9, v9                                       // 000000003D2C: 7E124109
	v_exp_f32_e32 v10, v10                                     // 000000003D30: 7E14410A
	v_exp_f32_e32 v11, v11                                     // 000000003D34: 7E16410B
	v_pk_fma_f32 v[12:13], v[12:13], s[46:47], v[204:205]      // 000000003D38: D3B0400C 1F305D0C
	v_pk_fma_f32 v[14:15], v[14:15], s[46:47], v[204:205]      // 000000003D40: D3B0400E 1F305D0E
	v_exp_f32_e32 v12, v12                                     // 000000003D48: 7E18410C
	v_exp_f32_e32 v13, v13                                     // 000000003D4C: 7E1A410D
	v_exp_f32_e32 v14, v14                                     // 000000003D50: 7E1C410E
	v_exp_f32_e32 v15, v15                                     // 000000003D54: 7E1E410F
	v_pk_fma_f32 v[16:17], v[16:17], s[46:47], v[204:205]      // 000000003D58: D3B04010 1F305D10
	v_pk_fma_f32 v[18:19], v[18:19], s[46:47], v[204:205]      // 000000003D60: D3B04012 1F305D12
	v_exp_f32_e32 v16, v16                                     // 000000003D68: 7E204110
	v_exp_f32_e32 v17, v17                                     // 000000003D6C: 7E224111
	v_exp_f32_e32 v18, v18                                     // 000000003D70: 7E244112
	v_exp_f32_e32 v19, v19                                     // 000000003D74: 7E264113
	v_max_f32_e32 v168, v183, v165                             // 000000003D78: 17514BB7
	v_mul_f32_e64 v204, -s46, v168                             // 000000003D7C: D10500CC 2003502E
	v_mov_b32_e32 v205, v204                                   // 000000003D84: 7F9A03CC
	v_pk_fma_f32 v[20:21], v[20:21], s[46:47], v[204:205]      // 000000003D88: D3B04014 1F305D14
	v_pk_fma_f32 v[22:23], v[22:23], s[46:47], v[204:205]      // 000000003D90: D3B04016 1F305D16
	v_exp_f32_e32 v20, v20                                     // 000000003D98: 7E284114
	v_exp_f32_e32 v21, v21                                     // 000000003D9C: 7E2A4115
	v_exp_f32_e32 v22, v22                                     // 000000003DA0: 7E2C4116
	v_exp_f32_e32 v23, v23                                     // 000000003DA4: 7E2E4117
	v_pk_fma_f32 v[24:25], v[24:25], s[46:47], v[204:205]      // 000000003DA8: D3B04018 1F305D18
	v_pk_fma_f32 v[26:27], v[26:27], s[46:47], v[204:205]      // 000000003DB0: D3B0401A 1F305D1A
	v_exp_f32_e32 v24, v24                                     // 000000003DB8: 7E304118
	v_exp_f32_e32 v25, v25                                     // 000000003DBC: 7E324119
	v_exp_f32_e32 v26, v26                                     // 000000003DC0: 7E34411A
	v_exp_f32_e32 v27, v27                                     // 000000003DC4: 7E36411B
	v_pk_fma_f32 v[28:29], v[28:29], s[46:47], v[204:205]      // 000000003DC8: D3B0401C 1F305D1C
	v_pk_fma_f32 v[30:31], v[30:31], s[46:47], v[204:205]      // 000000003DD0: D3B0401E 1F305D1E
	v_exp_f32_e32 v28, v28                                     // 000000003DD8: 7E38411C
	v_exp_f32_e32 v29, v29                                     // 000000003DDC: 7E3A411D
	v_exp_f32_e32 v30, v30                                     // 000000003DE0: 7E3C411E
	v_exp_f32_e32 v31, v31                                     // 000000003DE4: 7E3E411F
	v_pk_fma_f32 v[32:33], v[32:33], s[46:47], v[204:205]      // 000000003DE8: D3B04020 1F305D20
	v_pk_fma_f32 v[34:35], v[34:35], s[46:47], v[204:205]      // 000000003DF0: D3B04022 1F305D22
	v_exp_f32_e32 v32, v32                                     // 000000003DF8: 7E404120
	v_exp_f32_e32 v33, v33                                     // 000000003DFC: 7E424121
	v_exp_f32_e32 v34, v34                                     // 000000003E00: 7E444122
	v_exp_f32_e32 v35, v35                                     // 000000003E04: 7E464123
	v_max_f32_e32 v169, v184, v166                             // 000000003E08: 17534DB8
	v_mul_f32_e64 v204, -s46, v169                             // 000000003E0C: D10500CC 2003522E
	v_mov_b32_e32 v205, v204                                   // 000000003E14: 7F9A03CC
	v_pk_fma_f32 v[36:37], v[36:37], s[46:47], v[204:205]      // 000000003E18: D3B04024 1F305D24
	v_pk_fma_f32 v[38:39], v[38:39], s[46:47], v[204:205]      // 000000003E20: D3B04026 1F305D26
	v_exp_f32_e32 v36, v36                                     // 000000003E28: 7E484124
	v_exp_f32_e32 v37, v37                                     // 000000003E2C: 7E4A4125
	v_exp_f32_e32 v38, v38                                     // 000000003E30: 7E4C4126
	v_exp_f32_e32 v39, v39                                     // 000000003E34: 7E4E4127
	v_pk_fma_f32 v[40:41], v[40:41], s[46:47], v[204:205]      // 000000003E38: D3B04028 1F305D28
	v_pk_fma_f32 v[42:43], v[42:43], s[46:47], v[204:205]      // 000000003E40: D3B0402A 1F305D2A
	v_exp_f32_e32 v40, v40                                     // 000000003E48: 7E504128
	v_exp_f32_e32 v41, v41                                     // 000000003E4C: 7E524129
	v_exp_f32_e32 v42, v42                                     // 000000003E50: 7E54412A
	v_exp_f32_e32 v43, v43                                     // 000000003E54: 7E56412B
	v_pk_fma_f32 v[44:45], v[44:45], s[46:47], v[204:205]      // 000000003E58: D3B0402C 1F305D2C
	v_pk_fma_f32 v[46:47], v[46:47], s[46:47], v[204:205]      // 000000003E60: D3B0402E 1F305D2E
	v_exp_f32_e32 v44, v44                                     // 000000003E68: 7E58412C
	v_exp_f32_e32 v45, v45                                     // 000000003E6C: 7E5A412D
	v_exp_f32_e32 v46, v46                                     // 000000003E70: 7E5C412E
	v_exp_f32_e32 v47, v47                                     // 000000003E74: 7E5E412F
	v_pk_fma_f32 v[48:49], v[48:49], s[46:47], v[204:205]      // 000000003E78: D3B04030 1F305D30
	v_pk_fma_f32 v[50:51], v[50:51], s[46:47], v[204:205]      // 000000003E80: D3B04032 1F305D32
	v_exp_f32_e32 v48, v48                                     // 000000003E88: 7E604130
	v_exp_f32_e32 v49, v49                                     // 000000003E8C: 7E624131
	v_exp_f32_e32 v50, v50                                     // 000000003E90: 7E644132
	v_exp_f32_e32 v51, v51                                     // 000000003E94: 7E664133
	v_mul_f32_dpp v52, v156, v4 row_newbcast:0 row_mask:0xf bank_mask:0xf// 000000003E98: 0A6808FA FF01509C
	v_mul_f32_dpp v53, v156, v5 row_newbcast:1 row_mask:0xf bank_mask:0xf// 000000003EA0: 0A6A0AFA FF01519C
	v_mul_f32_dpp v54, v156, v6 row_newbcast:2 row_mask:0xf bank_mask:0xf// 000000003EA8: 0A6C0CFA FF01529C
	v_mul_f32_dpp v55, v156, v7 row_newbcast:3 row_mask:0xf bank_mask:0xf// 000000003EB0: 0A6E0EFA FF01539C
	v_mul_f32_dpp v56, v156, v8 row_newbcast:4 row_mask:0xf bank_mask:0xf// 000000003EB8: 0A7010FA FF01549C
	v_mul_f32_dpp v57, v156, v9 row_newbcast:5 row_mask:0xf bank_mask:0xf// 000000003EC0: 0A7212FA FF01559C
	v_mul_f32_dpp v58, v156, v10 row_newbcast:6 row_mask:0xf bank_mask:0xf// 000000003EC8: 0A7414FA FF01569C
	v_mul_f32_dpp v59, v156, v11 row_newbcast:7 row_mask:0xf bank_mask:0xf// 000000003ED0: 0A7616FA FF01579C
	v_mul_f32_dpp v60, v156, v12 row_newbcast:8 row_mask:0xf bank_mask:0xf// 000000003ED8: 0A7818FA FF01589C
	v_mul_f32_dpp v61, v156, v13 row_newbcast:9 row_mask:0xf bank_mask:0xf// 000000003EE0: 0A7A1AFA FF01599C
	v_mul_f32_dpp v62, v156, v14 row_newbcast:10 row_mask:0xf bank_mask:0xf// 000000003EE8: 0A7C1CFA FF015A9C
	v_mul_f32_dpp v63, v156, v15 row_newbcast:11 row_mask:0xf bank_mask:0xf// 000000003EF0: 0A7E1EFA FF015B9C
	v_mul_f32_dpp v64, v156, v16 row_newbcast:12 row_mask:0xf bank_mask:0xf// 000000003EF8: 0A8020FA FF015C9C
	v_mul_f32_dpp v65, v156, v17 row_newbcast:13 row_mask:0xf bank_mask:0xf// 000000003F00: 0A8222FA FF015D9C
	v_mul_f32_dpp v66, v156, v18 row_newbcast:14 row_mask:0xf bank_mask:0xf// 000000003F08: 0A8424FA FF015E9C
	v_mul_f32_dpp v67, v156, v19 row_newbcast:15 row_mask:0xf bank_mask:0xf// 000000003F10: 0A8626FA FF015F9C
	v_mul_f32_dpp v68, v156, v20 row_newbcast:0 row_mask:0xf bank_mask:0xf// 000000003F18: 0A8828FA FF01509C
	v_mul_f32_dpp v69, v156, v21 row_newbcast:1 row_mask:0xf bank_mask:0xf// 000000003F20: 0A8A2AFA FF01519C
	v_mul_f32_dpp v70, v156, v22 row_newbcast:2 row_mask:0xf bank_mask:0xf// 000000003F28: 0A8C2CFA FF01529C
	v_mul_f32_dpp v71, v156, v23 row_newbcast:3 row_mask:0xf bank_mask:0xf// 000000003F30: 0A8E2EFA FF01539C
	v_mul_f32_dpp v72, v156, v24 row_newbcast:4 row_mask:0xf bank_mask:0xf// 000000003F38: 0A9030FA FF01549C
	v_mul_f32_dpp v73, v156, v25 row_newbcast:5 row_mask:0xf bank_mask:0xf// 000000003F40: 0A9232FA FF01559C
	v_mul_f32_dpp v74, v156, v26 row_newbcast:6 row_mask:0xf bank_mask:0xf// 000000003F48: 0A9434FA FF01569C
	v_mul_f32_dpp v75, v156, v27 row_newbcast:7 row_mask:0xf bank_mask:0xf// 000000003F50: 0A9636FA FF01579C
	v_mul_f32_dpp v76, v156, v28 row_newbcast:8 row_mask:0xf bank_mask:0xf// 000000003F58: 0A9838FA FF01589C
	v_mul_f32_dpp v77, v156, v29 row_newbcast:9 row_mask:0xf bank_mask:0xf// 000000003F60: 0A9A3AFA FF01599C
	v_mul_f32_dpp v78, v156, v30 row_newbcast:10 row_mask:0xf bank_mask:0xf// 000000003F68: 0A9C3CFA FF015A9C
	v_mul_f32_dpp v79, v156, v31 row_newbcast:11 row_mask:0xf bank_mask:0xf// 000000003F70: 0A9E3EFA FF015B9C
	v_mul_f32_dpp v80, v156, v32 row_newbcast:12 row_mask:0xf bank_mask:0xf// 000000003F78: 0AA040FA FF015C9C
	v_mul_f32_dpp v81, v156, v33 row_newbcast:13 row_mask:0xf bank_mask:0xf// 000000003F80: 0AA242FA FF015D9C
	v_mul_f32_dpp v82, v156, v34 row_newbcast:14 row_mask:0xf bank_mask:0xf// 000000003F88: 0AA444FA FF015E9C
	v_mul_f32_dpp v83, v156, v35 row_newbcast:15 row_mask:0xf bank_mask:0xf// 000000003F90: 0AA646FA FF015F9C
	v_mul_f32_dpp v84, v156, v36 row_newbcast:0 row_mask:0xf bank_mask:0xf// 000000003F98: 0AA848FA FF01509C
	v_mul_f32_dpp v85, v156, v37 row_newbcast:1 row_mask:0xf bank_mask:0xf// 000000003FA0: 0AAA4AFA FF01519C
	v_mul_f32_dpp v86, v156, v38 row_newbcast:2 row_mask:0xf bank_mask:0xf// 000000003FA8: 0AAC4CFA FF01529C
	v_mul_f32_dpp v87, v156, v39 row_newbcast:3 row_mask:0xf bank_mask:0xf// 000000003FB0: 0AAE4EFA FF01539C
	v_mul_f32_dpp v88, v156, v40 row_newbcast:4 row_mask:0xf bank_mask:0xf// 000000003FB8: 0AB050FA FF01549C
	v_mul_f32_dpp v89, v156, v41 row_newbcast:5 row_mask:0xf bank_mask:0xf// 000000003FC0: 0AB252FA FF01559C
	v_mul_f32_dpp v90, v156, v42 row_newbcast:6 row_mask:0xf bank_mask:0xf// 000000003FC8: 0AB454FA FF01569C
	v_mul_f32_dpp v91, v156, v43 row_newbcast:7 row_mask:0xf bank_mask:0xf// 000000003FD0: 0AB656FA FF01579C
	v_mul_f32_dpp v92, v156, v44 row_newbcast:8 row_mask:0xf bank_mask:0xf// 000000003FD8: 0AB858FA FF01589C
	v_mul_f32_dpp v93, v156, v45 row_newbcast:9 row_mask:0xf bank_mask:0xf// 000000003FE0: 0ABA5AFA FF01599C
	v_mul_f32_dpp v94, v156, v46 row_newbcast:10 row_mask:0xf bank_mask:0xf// 000000003FE8: 0ABC5CFA FF015A9C
	v_mul_f32_dpp v95, v156, v47 row_newbcast:11 row_mask:0xf bank_mask:0xf// 000000003FF0: 0ABE5EFA FF015B9C
	v_mul_f32_dpp v96, v156, v48 row_newbcast:12 row_mask:0xf bank_mask:0xf// 000000003FF8: 0AC060FA FF015C9C
	v_mul_f32_dpp v97, v156, v49 row_newbcast:13 row_mask:0xf bank_mask:0xf// 000000004000: 0AC262FA FF015D9C
	v_mul_f32_dpp v98, v156, v50 row_newbcast:14 row_mask:0xf bank_mask:0xf// 000000004008: 0AC464FA FF015E9C
	v_mul_f32_dpp v99, v156, v51 row_newbcast:15 row_mask:0xf bank_mask:0xf// 000000004010: 0AC666FA FF015F9C
	buffer_load_dword v155, v235, s[20:23], 0 offen            // 000000004018: E0501000 80059BEB
	v_sub_f32_e32 v170, v164, v167                             // 000000004020: 05554FA4
	v_cmp_eq_u32_e64 s[98:99], v222, v164                      // 000000004024: D0CA0062 000349DE
	v_cndmask_b32_e64 v170, v170, 0, s[98:99]                  // 00000000402C: D10000AA 018901AA
	v_mov_b32_e32 v164, v167                                   // 000000004034: 7F4803A7
	v_mul_f32_e32 v170, s46, v170                              // 000000004038: 0B55542E
	v_exp_f32_e32 v170, v170                                   // 00000000403C: 7F5441AA
	v_sub_f32_e32 v172, v165, v168                             // 000000004040: 055951A5
	v_cmp_eq_u32_e64 s[98:99], v222, v165                      // 000000004044: D0CA0062 00034BDE
	v_cndmask_b32_e64 v172, v172, 0, s[98:99]                  // 00000000404C: D10000AC 018901AC
	v_mov_b32_e32 v165, v168                                   // 000000004054: 7F4A03A8
	v_mul_f32_e32 v172, s46, v172                              // 000000004058: 0B59582E
	v_exp_f32_e32 v172, v172                                   // 00000000405C: 7F5841AC
	v_sub_f32_e32 v174, v166, v169                             // 000000004060: 055D53A6
	v_cmp_eq_u32_e64 s[98:99], v222, v166                      // 000000004064: D0CA0062 00034DDE
	v_cndmask_b32_e64 v174, v174, 0, s[98:99]                  // 00000000406C: D10000AE 018901AE
	v_mov_b32_e32 v166, v169                                   // 000000004074: 7F4C03A9
	v_mul_f32_e32 v174, s46, v174                              // 000000004078: 0B5D5C2E
	v_exp_f32_e32 v174, v174                                   // 00000000407C: 7F5C41AE
	v_mov_b32_e32 v171, v170                                   // 000000004080: 7F5603AA
	v_mov_b32_e32 v173, v172                                   // 000000004084: 7F5A03AC
	v_mov_b32_e32 v175, v174                                   // 000000004088: 7F5E03AE
	s_waitcnt lgkmcnt(0)                                       // 00000000408C: BF8CC07F
	s_barrier                                                  // 000000004090: BF8A0000
	buffer_load_dword v157, v236, s[24:27], 0 offen            // 000000004094: E0501000 80069DEC
	v_mul_f32_e32 v176, v170, v176                             // 00000000409C: 0B6161AA
	v_mov_b32_e32 v177, 0                                      // 0000000040A0: 7F620280
	v_pk_add_f32 v[176:177], v[4:5], v[176:177]                // 0000000040A4: D3B240B0 18036104
	v_pk_add_f32 v[176:177], v[6:7], v[176:177]                // 0000000040AC: D3B240B0 18036106
	v_pk_add_f32 v[176:177], v[8:9], v[176:177]                // 0000000040B4: D3B240B0 18036108
	v_pk_add_f32 v[176:177], v[10:11], v[176:177]              // 0000000040BC: D3B240B0 1803610A
	v_pk_add_f32 v[176:177], v[12:13], v[176:177]              // 0000000040C4: D3B240B0 1803610C
	v_pk_add_f32 v[176:177], v[14:15], v[176:177]              // 0000000040CC: D3B240B0 1803610E
	v_pk_add_f32 v[176:177], v[16:17], v[176:177]              // 0000000040D4: D3B240B0 18036110
	v_pk_add_f32 v[176:177], v[18:19], v[176:177]              // 0000000040DC: D3B240B0 18036112
	v_add_f32_e32 v176, v177, v176                             // 0000000040E4: 036161B1
	v_mul_f32_e32 v178, v172, v178                             // 0000000040E8: 0B6565AC
	v_mov_b32_e32 v179, 0                                      // 0000000040EC: 7F660280
	v_pk_add_f32 v[178:179], v[20:21], v[178:179]              // 0000000040F0: D3B240B2 18036514
	v_pk_add_f32 v[178:179], v[22:23], v[178:179]              // 0000000040F8: D3B240B2 18036516
	v_pk_add_f32 v[178:179], v[24:25], v[178:179]              // 000000004100: D3B240B2 18036518
	v_pk_add_f32 v[178:179], v[26:27], v[178:179]              // 000000004108: D3B240B2 1803651A
	v_pk_add_f32 v[178:179], v[28:29], v[178:179]              // 000000004110: D3B240B2 1803651C
	v_pk_add_f32 v[178:179], v[30:31], v[178:179]              // 000000004118: D3B240B2 1803651E
	v_pk_add_f32 v[178:179], v[32:33], v[178:179]              // 000000004120: D3B240B2 18036520
	v_pk_add_f32 v[178:179], v[34:35], v[178:179]              // 000000004128: D3B240B2 18036522
	v_add_f32_e32 v178, v179, v178                             // 000000004130: 036565B3
	v_mul_f32_e32 v180, v174, v180                             // 000000004134: 0B6969AE
	v_mov_b32_e32 v181, 0                                      // 000000004138: 7F6A0280
	v_pk_add_f32 v[180:181], v[36:37], v[180:181]              // 00000000413C: D3B240B4 18036924
	v_pk_add_f32 v[180:181], v[38:39], v[180:181]              // 000000004144: D3B240B4 18036926
	v_pk_add_f32 v[180:181], v[40:41], v[180:181]              // 00000000414C: D3B240B4 18036928
	v_pk_add_f32 v[180:181], v[42:43], v[180:181]              // 000000004154: D3B240B4 1803692A
	v_pk_add_f32 v[180:181], v[44:45], v[180:181]              // 00000000415C: D3B240B4 1803692C
	v_pk_add_f32 v[180:181], v[46:47], v[180:181]              // 000000004164: D3B240B4 1803692E
	v_pk_add_f32 v[180:181], v[48:49], v[180:181]              // 00000000416C: D3B240B4 18036930
	v_pk_add_f32 v[180:181], v[50:51], v[180:181]              // 000000004174: D3B240B4 18036932
	v_add_f32_e32 v180, v181, v180                             // 00000000417C: 036969B5
	s_waitcnt lgkmcnt(0)                                       // 000000004180: BF8CC07F
	v_sub_f32_e32 v182, v182, v164                             // 000000004184: 056D49B6
	v_sub_f32_e32 v183, v183, v165                             // 000000004188: 056F4BB7
	v_sub_f32_e32 v184, v184, v166                             // 00000000418C: 05714DB8
	v_mul_f32_e32 v182, s46, v182                              // 000000004190: 0B6D6C2E
	v_mul_f32_e32 v183, s46, v183                              // 000000004194: 0B6F6E2E
	v_mul_f32_e32 v184, s46, v184                              // 000000004198: 0B71702E
	v_exp_f32_e32 v182, v182                                   // 00000000419C: 7F6C41B6
	v_exp_f32_e32 v183, v183                                   // 0000000041A0: 7F6E41B7
	v_exp_f32_e32 v184, v184                                   // 0000000041A4: 7F7041B8
	v_mul_f32_e32 v182, v156, v182                             // 0000000041A8: 0B6D6D9C
	v_mul_f32_e32 v183, v156, v183                             // 0000000041AC: 0B6F6F9C
	v_mul_f32_e32 v184, v156, v184                             // 0000000041B0: 0B71719C
	v_add_f32_e32 v182, 0x3089705f, v182                       // 0000000041B4: 036D6CFF 3089705F
	v_add_f32_e32 v183, 0x3089705f, v183                       // 0000000041BC: 036F6EFF 3089705F
	v_add_f32_e32 v184, 0x3089705f, v184                       // 0000000041C4: 037170FF 3089705F
	v_rcp_f32_e32 v182, v182                                   // 0000000041CC: 7F6C45B6
	v_rcp_f32_e32 v183, v183                                   // 0000000041D0: 7F6E45B7
	v_rcp_f32_e32 v184, v184                                   // 0000000041D4: 7F7045B8
	v_mul_f32_e32 v182, 0x43700000, v182                       // 0000000041D8: 0B6D6CFF 43700000
	v_mul_f32_e32 v183, 0x43700000, v183                       // 0000000041E0: 0B6F6EFF 43700000
	v_mul_f32_e32 v184, 0x43700000, v184                       // 0000000041E8: 0B7170FF 43700000
	v_mov_b32_e32 v186, v184                                   // 0000000041F0: 7F7403B8
	v_mov_b32_e32 v187, v184                                   // 0000000041F4: 7F7603B8
	v_mov_b32_e32 v184, v183                                   // 0000000041F8: 7F7003B7
	v_mov_b32_e32 v185, v183                                   // 0000000041FC: 7F7203B7
	v_mov_b32_e32 v183, v182                                   // 000000004200: 7F6E03B6
	v_pk_mul_f32 v[4:5], v[182:183], v[52:53]                  // 000000004204: D3B14004 180269B6
	v_pk_mul_f32 v[6:7], v[182:183], v[54:55]                  // 00000000420C: D3B14006 18026DB6
	v_pk_mul_f32 v[8:9], v[182:183], v[56:57]                  // 000000004214: D3B14008 180271B6
	v_pk_mul_f32 v[10:11], v[182:183], v[58:59]                // 00000000421C: D3B1400A 180275B6
	v_pk_mul_f32 v[12:13], v[182:183], v[60:61]                // 000000004224: D3B1400C 180279B6
	v_pk_mul_f32 v[14:15], v[182:183], v[62:63]                // 00000000422C: D3B1400E 18027DB6
	v_pk_mul_f32 v[16:17], v[182:183], v[64:65]                // 000000004234: D3B14010 180281B6
	v_pk_mul_f32 v[18:19], v[182:183], v[66:67]                // 00000000423C: D3B14012 180285B6
	v_pk_mul_f32 v[20:21], v[184:185], v[68:69]                // 000000004244: D3B14014 180289B8
	v_pk_mul_f32 v[22:23], v[184:185], v[70:71]                // 00000000424C: D3B14016 18028DB8
	v_pk_mul_f32 v[24:25], v[184:185], v[72:73]                // 000000004254: D3B14018 180291B8
	v_pk_mul_f32 v[26:27], v[184:185], v[74:75]                // 00000000425C: D3B1401A 180295B8
	v_pk_mul_f32 v[28:29], v[184:185], v[76:77]                // 000000004264: D3B1401C 180299B8
	v_pk_mul_f32 v[30:31], v[184:185], v[78:79]                // 00000000426C: D3B1401E 18029DB8
	v_pk_mul_f32 v[32:33], v[184:185], v[80:81]                // 000000004274: D3B14020 1802A1B8
	v_pk_mul_f32 v[34:35], v[184:185], v[82:83]                // 00000000427C: D3B14022 1802A5B8
	v_pk_mul_f32 v[36:37], v[186:187], v[84:85]                // 000000004284: D3B14024 1802A9BA
	v_pk_mul_f32 v[38:39], v[186:187], v[86:87]                // 00000000428C: D3B14026 1802ADBA
	v_pk_mul_f32 v[40:41], v[186:187], v[88:89]                // 000000004294: D3B14028 1802B1BA
	v_pk_mul_f32 v[42:43], v[186:187], v[90:91]                // 00000000429C: D3B1402A 1802B5BA
	v_pk_mul_f32 v[44:45], v[186:187], v[92:93]                // 0000000042A4: D3B1402C 1802B9BA
	v_pk_mul_f32 v[46:47], v[186:187], v[94:95]                // 0000000042AC: D3B1402E 1802BDBA
	v_pk_mul_f32 v[48:49], v[186:187], v[96:97]                // 0000000042B4: D3B14030 1802C1BA
	v_pk_mul_f32 v[50:51], v[186:187], v[98:99]                // 0000000042BC: D3B14032 1802C5BA
	v_cvt_pk_fp8_f32 v4, v4, v5                                // 0000000042C4: D2A20004 00020B04
	v_cvt_pk_fp8_f32 v4, v6, v7 op_sel:[0,0,1]                 // 0000000042CC: D2A24004 00020F06
	v_cvt_pk_fp8_f32 v5, v8, v9                                // 0000000042D4: D2A20005 00021308
	v_cvt_pk_fp8_f32 v5, v10, v11 op_sel:[0,0,1]               // 0000000042DC: D2A24005 0002170A
	v_cvt_pk_fp8_f32 v6, v12, v13                              // 0000000042E4: D2A20006 00021B0C
	v_cvt_pk_fp8_f32 v6, v14, v15 op_sel:[0,0,1]               // 0000000042EC: D2A24006 00021F0E
	v_cvt_pk_fp8_f32 v7, v16, v17                              // 0000000042F4: D2A20007 00022310
	v_cvt_pk_fp8_f32 v7, v18, v19 op_sel:[0,0,1]               // 0000000042FC: D2A24007 00022712
	v_cvt_pk_fp8_f32 v8, v20, v21                              // 000000004304: D2A20008 00022B14
	v_cvt_pk_fp8_f32 v8, v22, v23 op_sel:[0,0,1]               // 00000000430C: D2A24008 00022F16
	v_cvt_pk_fp8_f32 v9, v24, v25                              // 000000004314: D2A20009 00023318
	v_cvt_pk_fp8_f32 v9, v26, v27 op_sel:[0,0,1]               // 00000000431C: D2A24009 0002371A
	v_cvt_pk_fp8_f32 v10, v28, v29                             // 000000004324: D2A2000A 00023B1C
	v_cvt_pk_fp8_f32 v10, v30, v31 op_sel:[0,0,1]              // 00000000432C: D2A2400A 00023F1E
	v_cvt_pk_fp8_f32 v11, v32, v33                             // 000000004334: D2A2000B 00024320
	v_cvt_pk_fp8_f32 v11, v34, v35 op_sel:[0,0,1]              // 00000000433C: D2A2400B 00024722
	v_cvt_pk_fp8_f32 v12, v36, v37                             // 000000004344: D2A2000C 00024B24
	v_cvt_pk_fp8_f32 v12, v38, v39 op_sel:[0,0,1]              // 00000000434C: D2A2400C 00024F26
	v_cvt_pk_fp8_f32 v13, v40, v41                             // 000000004354: D2A2000D 00025328
	v_cvt_pk_fp8_f32 v13, v42, v43 op_sel:[0,0,1]              // 00000000435C: D2A2400D 0002572A
	v_cvt_pk_fp8_f32 v14, v44, v45                             // 000000004364: D2A2000E 00025B2C
	v_cvt_pk_fp8_f32 v14, v46, v47 op_sel:[0,0,1]              // 00000000436C: D2A2400E 00025F2E
	v_cvt_pk_fp8_f32 v15, v48, v49                             // 000000004374: D2A2000F 00026330
	v_cvt_pk_fp8_f32 v15, v50, v51 op_sel:[0,0,1]              // 00000000437C: D2A2400F 00026732
	ds_write_b32 v251, v4 offset:8192                          // 000000004384: D81A2000 000004FB
	ds_write_b32 v251, v5 offset:9216                          // 00000000438C: D81A2400 000005FB
	ds_write_b32 v251, v6 offset:10240                         // 000000004394: D81A2800 000006FB
	ds_write_b32 v251, v7 offset:11264                         // 00000000439C: D81A2C00 000007FB
	ds_write_b32 v251, v8 offset:12288                         // 0000000043A4: D81A3000 000008FB
	ds_write_b32 v251, v9 offset:13312                         // 0000000043AC: D81A3400 000009FB
	ds_write_b32 v251, v10 offset:14336                        // 0000000043B4: D81A3800 00000AFB
	ds_write_b32 v251, v11 offset:15360                        // 0000000043BC: D81A3C00 00000BFB
	ds_write_b32 v251, v12 offset:16384                        // 0000000043C4: D81A4000 00000CFB
	ds_write_b32 v251, v13 offset:17408                        // 0000000043CC: D81A4400 00000DFB
	ds_write_b32 v251, v14 offset:18432                        // 0000000043D4: D81A4800 00000EFB
	ds_write_b32 v251, v15 offset:19456                        // 0000000043DC: D81A4C00 00000FFB
	v_rcp_f32_e32 v158, v182                                   // 0000000043E4: 7F3C45B6
	v_rcp_f32_e32 v160, v184                                   // 0000000043E8: 7F4045B8
	v_rcp_f32_e32 v162, v186                                   // 0000000043EC: 7F4445BA
	v_mov_b32_e32 v159, v158                                   // 0000000043F0: 7F3E039E
	v_mov_b32_e32 v161, v160                                   // 0000000043F4: 7F4203A0
	v_mov_b32_e32 v163, v162                                   // 0000000043F8: 7F4603A2
	v_pk_add_f32 v[124:125], v[124:125], v[100:101]            // 0000000043FC: D3B2407C 1802C97C
	v_pk_add_f32 v[126:127], v[126:127], v[102:103]            // 000000004404: D3B2407E 1802CD7E
	v_pk_add_f32 v[128:129], v[128:129], v[104:105]            // 00000000440C: D3B24080 1802D180
	v_pk_add_f32 v[130:131], v[130:131], v[106:107]            // 000000004414: D3B24082 1802D582
	v_pk_add_f32 v[132:133], v[132:133], v[108:109]            // 00000000441C: D3B24084 1802D984
	v_pk_add_f32 v[134:135], v[134:135], v[110:111]            // 000000004424: D3B24086 1802DD86
	v_pk_add_f32 v[136:137], v[136:137], v[112:113]            // 00000000442C: D3B24088 1802E188
	v_pk_add_f32 v[138:139], v[138:139], v[114:115]            // 000000004434: D3B2408A 1802E58A
	v_pk_add_f32 v[140:141], v[140:141], v[116:117]            // 00000000443C: D3B2408C 1802E98C
	v_pk_add_f32 v[142:143], v[142:143], v[118:119]            // 000000004444: D3B2408E 1802ED8E
	v_pk_add_f32 v[144:145], v[144:145], v[120:121]            // 00000000444C: D3B24090 1802F190
	v_pk_add_f32 v[146:147], v[146:147], v[122:123]            // 000000004454: D3B24092 1802F592
	s_waitcnt lgkmcnt(0)                                       // 00000000445C: BF8CC07F
	s_barrier                                                  // 000000004460: BF8A0000
	ds_read_b128 v[4:7], v252 offset:8192                      // 000000004464: D9FE2000 040000FC
	ds_read_b128 v[8:11], v252 offset:9216                     // 00000000446C: D9FE2400 080000FC
	ds_read_b128 v[12:15], v252 offset:10240                   // 000000004474: D9FE2800 0C0000FC
	ds_read_b128 v[16:19], v252 offset:11264                   // 00000000447C: D9FE2C00 100000FC
	ds_read_b128 v[20:23], v252 offset:12288                   // 000000004484: D9FE3000 140000FC
	ds_read_b128 v[24:27], v252 offset:13312                   // 00000000448C: D9FE3400 180000FC
	ds_read_b128 v[28:31], v252 offset:14336                   // 000000004494: D9FE3800 1C0000FC
	ds_read_b128 v[32:35], v252 offset:15360                   // 00000000449C: D9FE3C00 200000FC
	ds_read_b128 v[36:39], v252 offset:16384                   // 0000000044A4: D9FE4000 240000FC
	ds_read_b128 v[40:43], v252 offset:17408                   // 0000000044AC: D9FE4400 280000FC
	ds_read_b128 v[44:47], v252 offset:18432                   // 0000000044B4: D9FE4800 2C0000FC
	ds_read_b128 v[48:51], v252 offset:19456                   // 0000000044BC: D9FE4C00 300000FC
	s_waitcnt vmcnt(10)                                        // 0000000044C4: BF8C0F7A
	s_waitcnt lgkmcnt(11)                                      // 0000000044C8: BF8CCB7F
	v_mfma_f32_16x16x32_fp8_fp8 v[100:103], a[88:89], v[4:5], 0// 0000000044CC: D3F30064 0A020958
	s_lshl_b32 s68, s76, 2                                     // 0000000044D4: 8E44824C
	v_mfma_f32_16x16x32_fp8_fp8 v[104:107], a[104:105], v[4:5], 0// 0000000044D8: D3F30068 0A020968
	s_cmp_lt_u32 s76, s77                                      // 0000000044E0: BF0A4D4C
	s_cselect_b32 s68, s68, 0                                  // 0000000044E4: 85448044
	v_mfma_f32_16x16x32_fp8_fp8 v[100:103], a[90:91], v[6:7], v[100:103]// 0000000044E8: D3F30064 0D920D5A
	buffer_load_dwordx4 a[120:123], v231, s[16:19], 0 offen    // 0000000044F0: E05C1000 808478E7
	v_mfma_f32_16x16x32_fp8_fp8 v[104:107], a[106:107], v[6:7], v[104:107]// 0000000044F8: D3F30068 0DA20D6A
	s_addk_i32 s76, 0x1                                        // 000000004500: B74C0001
	s_waitcnt lgkmcnt(10)                                      // 000000004504: BF8CCA7F
	v_mfma_f32_16x16x32_fp8_fp8 v[100:103], a[92:93], v[8:9], v[100:103]// 000000004508: D3F30064 0D92115C
	v_mfma_f32_16x16x32_fp8_fp8 v[104:107], a[108:109], v[8:9], v[104:107]// 000000004510: D3F30068 0DA2116C
	v_mfma_f32_16x16x32_fp8_fp8 v[100:103], a[94:95], v[10:11], v[100:103]// 000000004518: D3F30064 0D92155E
	buffer_load_dwordx4 a[124:127], v232, s[16:19], 0 offen    // 000000004520: E05C1000 80847CE8
	v_mfma_f32_16x16x32_fp8_fp8 v[104:107], a[110:111], v[10:11], v[104:107]// 000000004528: D3F30068 0DA2156E
	s_waitcnt lgkmcnt(9)                                       // 000000004530: BF8CC97F
	v_mfma_f32_16x16x32_fp8_fp8 v[100:103], a[96:97], v[12:13], v[100:103]// 000000004534: D3F30064 0D921960
	v_mfma_f32_16x16x32_fp8_fp8 v[104:107], a[112:113], v[12:13], v[104:107]// 00000000453C: D3F30068 0DA21970
	v_mfma_f32_16x16x32_fp8_fp8 v[100:103], a[98:99], v[14:15], v[100:103]// 000000004544: D3F30064 0D921D62
	buffer_load_dwordx4 a[128:131], v233, s[16:19], 0 offen    // 00000000454C: E05C1000 808480E9
	v_mfma_f32_16x16x32_fp8_fp8 v[104:107], a[114:115], v[14:15], v[104:107]// 000000004554: D3F30068 0DA21D72
	s_waitcnt lgkmcnt(8)                                       // 00000000455C: BF8CC87F
	v_mfma_f32_16x16x32_fp8_fp8 v[100:103], a[100:101], v[16:17], v[100:103]// 000000004560: D3F30064 0D922164
	v_mfma_f32_16x16x32_fp8_fp8 v[104:107], a[116:117], v[16:17], v[104:107]// 000000004568: D3F30068 0DA22174
	v_mfma_f32_16x16x32_fp8_fp8 v[100:103], a[102:103], v[18:19], v[100:103]// 000000004570: D3F30064 0D922566
	buffer_load_dwordx4 a[132:135], v234, s[16:19], 0 offen    // 000000004578: E05C1000 808484EA
	v_mfma_f32_16x16x32_fp8_fp8 v[104:107], a[118:119], v[18:19], v[104:107]// 000000004580: D3F30068 0DA22576
	s_waitcnt lgkmcnt(7)                                       // 000000004588: BF8CC77F
	v_mfma_f32_16x16x32_fp8_fp8 v[108:111], a[88:89], v[20:21], 0// 00000000458C: D3F3006C 0A022958
	v_mfma_f32_16x16x32_fp8_fp8 v[112:115], a[104:105], v[20:21], 0// 000000004594: D3F30070 0A022968
	v_mfma_f32_16x16x32_fp8_fp8 v[108:111], a[90:91], v[22:23], v[108:111]// 00000000459C: D3F3006C 0DB22D5A
	buffer_load_dwordx4 a[136:139], v231, s[16:19], 0 offen offset:1024// 0000000045A4: E05C1400 808488E7
	v_mfma_f32_16x16x32_fp8_fp8 v[112:115], a[106:107], v[22:23], v[112:115]// 0000000045AC: D3F30070 0DC22D6A
	s_waitcnt lgkmcnt(6)                                       // 0000000045B4: BF8CC67F
	v_mfma_f32_16x16x32_fp8_fp8 v[108:111], a[92:93], v[24:25], v[108:111]// 0000000045B8: D3F3006C 0DB2315C
	v_mfma_f32_16x16x32_fp8_fp8 v[112:115], a[108:109], v[24:25], v[112:115]// 0000000045C0: D3F30070 0DC2316C
	v_mfma_f32_16x16x32_fp8_fp8 v[108:111], a[94:95], v[26:27], v[108:111]// 0000000045C8: D3F3006C 0DB2355E
	buffer_load_dwordx4 a[140:143], v232, s[16:19], 0 offen offset:1024// 0000000045D0: E05C1400 80848CE8
	v_mfma_f32_16x16x32_fp8_fp8 v[112:115], a[110:111], v[26:27], v[112:115]// 0000000045D8: D3F30070 0DC2356E
	s_waitcnt lgkmcnt(5)                                       // 0000000045E0: BF8CC57F
	v_mfma_f32_16x16x32_fp8_fp8 v[108:111], a[96:97], v[28:29], v[108:111]// 0000000045E4: D3F3006C 0DB23960
	v_mfma_f32_16x16x32_fp8_fp8 v[112:115], a[112:113], v[28:29], v[112:115]// 0000000045EC: D3F30070 0DC23970
	v_mfma_f32_16x16x32_fp8_fp8 v[108:111], a[98:99], v[30:31], v[108:111]// 0000000045F4: D3F3006C 0DB23D62
	buffer_load_dwordx4 a[144:147], v233, s[16:19], 0 offen offset:1024// 0000000045FC: E05C1400 808490E9
	v_mfma_f32_16x16x32_fp8_fp8 v[112:115], a[114:115], v[30:31], v[112:115]// 000000004604: D3F30070 0DC23D72
	s_waitcnt lgkmcnt(4)                                       // 00000000460C: BF8CC47F
	v_mfma_f32_16x16x32_fp8_fp8 v[108:111], a[100:101], v[32:33], v[108:111]// 000000004610: D3F3006C 0DB24164
	v_mfma_f32_16x16x32_fp8_fp8 v[112:115], a[116:117], v[32:33], v[112:115]// 000000004618: D3F30070 0DC24174
	v_mfma_f32_16x16x32_fp8_fp8 v[108:111], a[102:103], v[34:35], v[108:111]// 000000004620: D3F3006C 0DB24566
	buffer_load_dwordx4 a[148:151], v234, s[16:19], 0 offen offset:1024// 000000004628: E05C1400 808494EA
	v_mfma_f32_16x16x32_fp8_fp8 v[112:115], a[118:119], v[34:35], v[112:115]// 000000004630: D3F30070 0DC24576
	s_waitcnt lgkmcnt(3)                                       // 000000004638: BF8CC37F
	v_mfma_f32_16x16x32_fp8_fp8 v[116:119], a[88:89], v[36:37], 0// 00000000463C: D3F30074 0A024958
	v_mfma_f32_16x16x32_fp8_fp8 v[120:123], a[104:105], v[36:37], 0// 000000004644: D3F30078 0A024968
	v_mfma_f32_16x16x32_fp8_fp8 v[116:119], a[90:91], v[38:39], v[116:119]// 00000000464C: D3F30074 0DD24D5A
	v_mfma_f32_16x16x32_fp8_fp8 v[120:123], a[106:107], v[38:39], v[120:123]// 000000004654: D3F30078 0DE24D6A
	s_waitcnt lgkmcnt(2)                                       // 00000000465C: BF8CC27F
	v_mfma_f32_16x16x32_fp8_fp8 v[116:119], a[92:93], v[40:41], v[116:119]// 000000004660: D3F30074 0DD2515C
	v_mfma_f32_16x16x32_fp8_fp8 v[120:123], a[108:109], v[40:41], v[120:123]// 000000004668: D3F30078 0DE2516C
	v_mfma_f32_16x16x32_fp8_fp8 v[116:119], a[94:95], v[42:43], v[116:119]// 000000004670: D3F30074 0DD2555E
	v_mfma_f32_16x16x32_fp8_fp8 v[120:123], a[110:111], v[42:43], v[120:123]// 000000004678: D3F30078 0DE2556E
	s_waitcnt lgkmcnt(1)                                       // 000000004680: BF8CC17F
	v_mfma_f32_16x16x32_fp8_fp8 v[116:119], a[96:97], v[44:45], v[116:119]// 000000004684: D3F30074 0DD25960
	v_mfma_f32_16x16x32_fp8_fp8 v[120:123], a[112:113], v[44:45], v[120:123]// 00000000468C: D3F30078 0DE25970
	v_mfma_f32_16x16x32_fp8_fp8 v[116:119], a[98:99], v[46:47], v[116:119]// 000000004694: D3F30074 0DD25D62
	v_mfma_f32_16x16x32_fp8_fp8 v[120:123], a[114:115], v[46:47], v[120:123]// 00000000469C: D3F30078 0DE25D72
	s_waitcnt lgkmcnt(0)                                       // 0000000046A4: BF8CC07F
	v_mfma_f32_16x16x32_fp8_fp8 v[116:119], a[100:101], v[48:49], v[116:119]// 0000000046A8: D3F30074 0DD26164
	v_mfma_f32_16x16x32_fp8_fp8 v[120:123], a[116:117], v[48:49], v[120:123]// 0000000046B0: D3F30078 0DE26174
	v_mfma_f32_16x16x32_fp8_fp8 v[116:119], a[102:103], v[50:51], v[116:119]// 0000000046B8: D3F30074 0DD26566
	v_mfma_f32_16x16x32_fp8_fp8 v[120:123], a[118:119], v[50:51], v[120:123]// 0000000046C0: D3F30078 0DE26576
	s_load_dword s59, s[42:43], s68                            // 0000000046C8: C0000ED5 00000044
	s_addk_i32 s64, 0x100                                      // 0000000046D0: B7400100
	s_cmp_lt_i32 s64, s63                                      // 0000000046D4: BF043F40
	s_cbranch_scc0 label_2C60                                  // 0000000046D8: BF842429
	s_waitcnt vmcnt(10)                                        // 0000000046DC: BF8C0F7A
	v_mfma_f32_16x16x32_fp8_fp8 v[4:7], a[56:57], a[0:1], 0    // 0000000046E0: D3F30004 1A020138
	s_add_u32 s12, s86, s69                                    // 0000000046E8: 800C4556
	s_addc_u32 s13, s87, 0                                     // 0000000046EC: 820D8057
	v_mfma_f32_16x16x32_fp8_fp8 v[4:7], a[58:59], a[2:3], v[4:7]// 0000000046F0: D3F30004 1C12053A
	s_add_u32 s16, s88, s70                                    // 0000000046F8: 80104658
	s_addc_u32 s17, s89, 0                                     // 0000000046FC: 82118059
	v_mfma_f32_16x16x32_fp8_fp8 v[4:7], a[60:61], a[4:5], v[4:7]// 000000004700: D3F30004 1C12093C
	buffer_load_dwordx4 a[24:27], v229, s[12:15], 0 offen      // 000000004708: E05C1000 808318E5
	v_mfma_f32_16x16x32_fp8_fp8 v[4:7], a[62:63], a[6:7], v[4:7]// 000000004710: D3F30004 1C120D3E
	s_add_u32 s20, s90, s71                                    // 000000004718: 8014475A
	s_addc_u32 s21, s91, 0                                     // 00000000471C: 8215805B
	v_mfma_f32_16x16x32_fp8_fp8 v[8:11], a[64:65], a[0:1], 0   // 000000004720: D3F30008 1A020140
	s_add_u32 s24, s92, s71                                    // 000000004728: 8018475C
	s_addc_u32 s25, s93, 0                                     // 00000000472C: 8219805D
	v_mfma_f32_16x16x32_fp8_fp8 v[8:11], a[66:67], a[2:3], v[8:11]// 000000004730: D3F30008 1C220542
	s_add_u32 s69, s69, 0x1000                                 // 000000004738: 8045FF45 00001000
	s_add_u32 s70, s70, 0x8000                                 // 000000004740: 8046FF46 00008000
	v_mfma_f32_16x16x32_fp8_fp8 v[8:11], a[68:69], a[4:5], v[8:11]// 000000004748: D3F30008 1C220944
	buffer_load_dwordx4 a[28:31], v230, s[12:15], 0 offen      // 000000004750: E05C1000 80831CE6
	v_mfma_f32_16x16x32_fp8_fp8 v[8:11], a[70:71], a[6:7], v[8:11]// 000000004758: D3F30008 1C220D46
	v_mfma_f32_16x16x32_fp8_fp8 v[12:15], a[72:73], a[0:1], 0  // 000000004760: D3F3000C 1A020148
	v_mfma_f32_16x16x32_fp8_fp8 v[12:15], a[74:75], a[2:3], v[12:15]// 000000004768: D3F3000C 1C32054A
	v_mfma_f32_16x16x32_fp8_fp8 v[12:15], a[76:77], a[4:5], v[12:15]// 000000004770: D3F3000C 1C32094C
	buffer_load_dwordx4 a[32:35], v229, s[12:15], 0 offen offset:1024// 000000004778: E05C1400 808320E5
	v_mfma_f32_16x16x32_fp8_fp8 v[12:15], a[78:79], a[6:7], v[12:15]// 000000004780: D3F3000C 1C320D4E
	v_mfma_f32_16x16x32_fp8_fp8 v[16:19], a[80:81], a[0:1], 0  // 000000004788: D3F30010 1A020150
	v_mfma_f32_16x16x32_fp8_fp8 v[16:19], a[82:83], a[2:3], v[16:19]// 000000004790: D3F30010 1C420552
	v_mfma_f32_16x16x32_fp8_fp8 v[16:19], a[84:85], a[4:5], v[16:19]// 000000004798: D3F30010 1C420954
	buffer_load_dwordx4 a[36:39], v230, s[12:15], 0 offen offset:1024// 0000000047A0: E05C1400 808324E6
	v_mfma_f32_16x16x32_fp8_fp8 v[16:19], a[86:87], a[6:7], v[16:19]// 0000000047A8: D3F30010 1C420D56
	v_mfma_f32_16x16x32_fp8_fp8 v[20:23], a[56:57], a[8:9], 0  // 0000000047B0: D3F30014 1A021138
	v_mfma_f32_16x16x32_fp8_fp8 v[20:23], a[58:59], a[10:11], v[20:23]// 0000000047B8: D3F30014 1C52153A
	v_mfma_f32_16x16x32_fp8_fp8 v[20:23], a[60:61], a[12:13], v[20:23]// 0000000047C0: D3F30014 1C52193C
	buffer_load_dwordx4 a[40:43], v229, s[12:15], 0 offen offset:2048// 0000000047C8: E05C1800 808328E5
	v_mfma_f32_16x16x32_fp8_fp8 v[20:23], a[62:63], a[14:15], v[20:23]// 0000000047D0: D3F30014 1C521D3E
	v_mfma_f32_16x16x32_fp8_fp8 v[24:27], a[64:65], a[8:9], 0  // 0000000047D8: D3F30018 1A021140
	v_mfma_f32_16x16x32_fp8_fp8 v[24:27], a[66:67], a[10:11], v[24:27]// 0000000047E0: D3F30018 1C621542
	v_mfma_f32_16x16x32_fp8_fp8 v[24:27], a[68:69], a[12:13], v[24:27]// 0000000047E8: D3F30018 1C621944
	buffer_load_dwordx4 a[44:47], v230, s[12:15], 0 offen offset:2048// 0000000047F0: E05C1800 80832CE6
	v_mfma_f32_16x16x32_fp8_fp8 v[24:27], a[70:71], a[14:15], v[24:27]// 0000000047F8: D3F30018 1C621D46
	v_mfma_f32_16x16x32_fp8_fp8 v[28:31], a[72:73], a[8:9], 0  // 000000004800: D3F3001C 1A021148
	v_mfma_f32_16x16x32_fp8_fp8 v[28:31], a[74:75], a[10:11], v[28:31]// 000000004808: D3F3001C 1C72154A
	v_mfma_f32_16x16x32_fp8_fp8 v[28:31], a[76:77], a[12:13], v[28:31]// 000000004810: D3F3001C 1C72194C
	buffer_load_dwordx4 a[48:51], v229, s[12:15], 0 offen offset:3072// 000000004818: E05C1C00 808330E5
	v_mfma_f32_16x16x32_fp8_fp8 v[28:31], a[78:79], a[14:15], v[28:31]// 000000004820: D3F3001C 1C721D4E
	v_mfma_f32_16x16x32_fp8_fp8 v[32:35], a[80:81], a[8:9], 0  // 000000004828: D3F30020 1A021150
	v_mfma_f32_16x16x32_fp8_fp8 v[32:35], a[82:83], a[10:11], v[32:35]// 000000004830: D3F30020 1C821552
	v_mfma_f32_16x16x32_fp8_fp8 v[32:35], a[84:85], a[12:13], v[32:35]// 000000004838: D3F30020 1C821954
	buffer_load_dwordx4 a[52:55], v230, s[12:15], 0 offen offset:3072// 000000004840: E05C1C00 808334E6
	v_mfma_f32_16x16x32_fp8_fp8 v[32:35], a[86:87], a[14:15], v[32:35]// 000000004848: D3F30020 1C821D56
	v_mfma_f32_16x16x32_fp8_fp8 v[36:39], a[56:57], a[16:17], 0// 000000004850: D3F30024 1A022138
	v_mfma_f32_16x16x32_fp8_fp8 v[36:39], a[58:59], a[18:19], v[36:39]// 000000004858: D3F30024 1C92253A
	v_mfma_f32_16x16x32_fp8_fp8 v[36:39], a[60:61], a[20:21], v[36:39]// 000000004860: D3F30024 1C92293C
	v_mfma_f32_16x16x32_fp8_fp8 v[36:39], a[62:63], a[22:23], v[36:39]// 000000004868: D3F30024 1C922D3E
	v_mfma_f32_16x16x32_fp8_fp8 v[40:43], a[64:65], a[16:17], 0// 000000004870: D3F30028 1A022140
	v_mfma_f32_16x16x32_fp8_fp8 v[40:43], a[66:67], a[18:19], v[40:43]// 000000004878: D3F30028 1CA22542
	v_mfma_f32_16x16x32_fp8_fp8 v[40:43], a[68:69], a[20:21], v[40:43]// 000000004880: D3F30028 1CA22944
	v_mfma_f32_16x16x32_fp8_fp8 v[40:43], a[70:71], a[22:23], v[40:43]// 000000004888: D3F30028 1CA22D46
	v_mfma_f32_16x16x32_fp8_fp8 v[44:47], a[72:73], a[16:17], 0// 000000004890: D3F3002C 1A022148
	v_mfma_f32_16x16x32_fp8_fp8 v[44:47], a[74:75], a[18:19], v[44:47]// 000000004898: D3F3002C 1CB2254A
	v_mfma_f32_16x16x32_fp8_fp8 v[44:47], a[76:77], a[20:21], v[44:47]// 0000000048A0: D3F3002C 1CB2294C
	v_mfma_f32_16x16x32_fp8_fp8 v[44:47], a[78:79], a[22:23], v[44:47]// 0000000048A8: D3F3002C 1CB22D4E
	v_mfma_f32_16x16x32_fp8_fp8 v[48:51], a[80:81], a[16:17], 0// 0000000048B0: D3F30030 1A022150
	v_mfma_f32_16x16x32_fp8_fp8 v[48:51], a[82:83], a[18:19], v[48:51]// 0000000048B8: D3F30030 1CC22552
	v_mfma_f32_16x16x32_fp8_fp8 v[48:51], a[84:85], a[20:21], v[48:51]// 0000000048C0: D3F30030 1CC22954
	v_mfma_f32_16x16x32_fp8_fp8 v[48:51], a[86:87], a[22:23], v[48:51]// 0000000048C8: D3F30030 1CC22D56
	s_waitcnt vmcnt(16)                                        // 0000000048D0: BF8C4F70
	v_pk_mul_f32 v[4:5], v[148:149], v[4:5]                    // 0000000048D4: D3B14004 18020994
	v_pk_mul_f32 v[6:7], v[148:149], v[6:7]                    // 0000000048DC: D3B14006 18020D94
	v_mul_f32_dpp v4, v155, v4 row_newbcast:0 row_mask:0xf bank_mask:0xf// 0000000048E4: 0A0808FA FF01509B
	v_mul_f32_dpp v5, v155, v5 row_newbcast:1 row_mask:0xf bank_mask:0xf// 0000000048EC: 0A0A0AFA FF01519B
	v_mul_f32_dpp v6, v155, v6 row_newbcast:2 row_mask:0xf bank_mask:0xf// 0000000048F4: 0A0C0CFA FF01529B
	v_mul_f32_dpp v7, v155, v7 row_newbcast:3 row_mask:0xf bank_mask:0xf// 0000000048FC: 0A0E0EFA FF01539B
	v_pk_mul_f32 v[8:9], v[148:149], v[8:9]                    // 000000004904: D3B14008 18021194
	v_pk_mul_f32 v[10:11], v[148:149], v[10:11]                // 00000000490C: D3B1400A 18021594
	v_mul_f32_dpp v8, v155, v8 row_newbcast:4 row_mask:0xf bank_mask:0xf// 000000004914: 0A1010FA FF01549B
	v_mul_f32_dpp v9, v155, v9 row_newbcast:5 row_mask:0xf bank_mask:0xf// 00000000491C: 0A1212FA FF01559B
	v_mul_f32_dpp v10, v155, v10 row_newbcast:6 row_mask:0xf bank_mask:0xf// 000000004924: 0A1414FA FF01569B
	v_mul_f32_dpp v11, v155, v11 row_newbcast:7 row_mask:0xf bank_mask:0xf// 00000000492C: 0A1616FA FF01579B
	v_pk_mul_f32 v[12:13], v[148:149], v[12:13]                // 000000004934: D3B1400C 18021994
	v_pk_mul_f32 v[14:15], v[148:149], v[14:15]                // 00000000493C: D3B1400E 18021D94
	v_mul_f32_dpp v12, v155, v12 row_newbcast:8 row_mask:0xf bank_mask:0xf// 000000004944: 0A1818FA FF01589B
	v_mul_f32_dpp v13, v155, v13 row_newbcast:9 row_mask:0xf bank_mask:0xf// 00000000494C: 0A1A1AFA FF01599B
	v_mul_f32_dpp v14, v155, v14 row_newbcast:10 row_mask:0xf bank_mask:0xf// 000000004954: 0A1C1CFA FF015A9B
	v_mul_f32_dpp v15, v155, v15 row_newbcast:11 row_mask:0xf bank_mask:0xf// 00000000495C: 0A1E1EFA FF015B9B
	v_pk_mul_f32 v[16:17], v[148:149], v[16:17]                // 000000004964: D3B14010 18022194
	v_pk_mul_f32 v[18:19], v[148:149], v[18:19]                // 00000000496C: D3B14012 18022594
	v_mul_f32_dpp v16, v155, v16 row_newbcast:12 row_mask:0xf bank_mask:0xf// 000000004974: 0A2020FA FF015C9B
	v_mul_f32_dpp v17, v155, v17 row_newbcast:13 row_mask:0xf bank_mask:0xf// 00000000497C: 0A2222FA FF015D9B
	v_mul_f32_dpp v18, v155, v18 row_newbcast:14 row_mask:0xf bank_mask:0xf// 000000004984: 0A2424FA FF015E9B
	v_mul_f32_dpp v19, v155, v19 row_newbcast:15 row_mask:0xf bank_mask:0xf// 00000000498C: 0A2626FA FF015F9B
	v_pk_mul_f32 v[20:21], v[150:151], v[20:21]                // 000000004994: D3B14014 18022996
	v_pk_mul_f32 v[22:23], v[150:151], v[22:23]                // 00000000499C: D3B14016 18022D96
	v_mul_f32_dpp v20, v155, v20 row_newbcast:0 row_mask:0xf bank_mask:0xf// 0000000049A4: 0A2828FA FF01509B
	v_mul_f32_dpp v21, v155, v21 row_newbcast:1 row_mask:0xf bank_mask:0xf// 0000000049AC: 0A2A2AFA FF01519B
	v_mul_f32_dpp v22, v155, v22 row_newbcast:2 row_mask:0xf bank_mask:0xf// 0000000049B4: 0A2C2CFA FF01529B
	v_mul_f32_dpp v23, v155, v23 row_newbcast:3 row_mask:0xf bank_mask:0xf// 0000000049BC: 0A2E2EFA FF01539B
	v_pk_mul_f32 v[24:25], v[150:151], v[24:25]                // 0000000049C4: D3B14018 18023196
	v_pk_mul_f32 v[26:27], v[150:151], v[26:27]                // 0000000049CC: D3B1401A 18023596
	v_mul_f32_dpp v24, v155, v24 row_newbcast:4 row_mask:0xf bank_mask:0xf// 0000000049D4: 0A3030FA FF01549B
	v_mul_f32_dpp v25, v155, v25 row_newbcast:5 row_mask:0xf bank_mask:0xf// 0000000049DC: 0A3232FA FF01559B
	v_mul_f32_dpp v26, v155, v26 row_newbcast:6 row_mask:0xf bank_mask:0xf// 0000000049E4: 0A3434FA FF01569B
	v_mul_f32_dpp v27, v155, v27 row_newbcast:7 row_mask:0xf bank_mask:0xf// 0000000049EC: 0A3636FA FF01579B
	v_pk_mul_f32 v[28:29], v[150:151], v[28:29]                // 0000000049F4: D3B1401C 18023996
	v_pk_mul_f32 v[30:31], v[150:151], v[30:31]                // 0000000049FC: D3B1401E 18023D96
	v_mul_f32_dpp v28, v155, v28 row_newbcast:8 row_mask:0xf bank_mask:0xf// 000000004A04: 0A3838FA FF01589B
	v_mul_f32_dpp v29, v155, v29 row_newbcast:9 row_mask:0xf bank_mask:0xf// 000000004A0C: 0A3A3AFA FF01599B
	v_mul_f32_dpp v30, v155, v30 row_newbcast:10 row_mask:0xf bank_mask:0xf// 000000004A14: 0A3C3CFA FF015A9B
	v_mul_f32_dpp v31, v155, v31 row_newbcast:11 row_mask:0xf bank_mask:0xf// 000000004A1C: 0A3E3EFA FF015B9B
	v_pk_mul_f32 v[32:33], v[150:151], v[32:33]                // 000000004A24: D3B14020 18024196
	v_pk_mul_f32 v[34:35], v[150:151], v[34:35]                // 000000004A2C: D3B14022 18024596
	v_mul_f32_dpp v32, v155, v32 row_newbcast:12 row_mask:0xf bank_mask:0xf// 000000004A34: 0A4040FA FF015C9B
	v_mul_f32_dpp v33, v155, v33 row_newbcast:13 row_mask:0xf bank_mask:0xf// 000000004A3C: 0A4242FA FF015D9B
	v_mul_f32_dpp v34, v155, v34 row_newbcast:14 row_mask:0xf bank_mask:0xf// 000000004A44: 0A4444FA FF015E9B
	v_mul_f32_dpp v35, v155, v35 row_newbcast:15 row_mask:0xf bank_mask:0xf// 000000004A4C: 0A4646FA FF015F9B
	v_pk_mul_f32 v[36:37], v[152:153], v[36:37]                // 000000004A54: D3B14024 18024998
	v_pk_mul_f32 v[38:39], v[152:153], v[38:39]                // 000000004A5C: D3B14026 18024D98
	v_mul_f32_dpp v36, v155, v36 row_newbcast:0 row_mask:0xf bank_mask:0xf// 000000004A64: 0A4848FA FF01509B
	v_mul_f32_dpp v37, v155, v37 row_newbcast:1 row_mask:0xf bank_mask:0xf// 000000004A6C: 0A4A4AFA FF01519B
	v_mul_f32_dpp v38, v155, v38 row_newbcast:2 row_mask:0xf bank_mask:0xf// 000000004A74: 0A4C4CFA FF01529B
	v_mul_f32_dpp v39, v155, v39 row_newbcast:3 row_mask:0xf bank_mask:0xf// 000000004A7C: 0A4E4EFA FF01539B
	v_pk_mul_f32 v[40:41], v[152:153], v[40:41]                // 000000004A84: D3B14028 18025198
	v_pk_mul_f32 v[42:43], v[152:153], v[42:43]                // 000000004A8C: D3B1402A 18025598
	v_mul_f32_dpp v40, v155, v40 row_newbcast:4 row_mask:0xf bank_mask:0xf// 000000004A94: 0A5050FA FF01549B
	v_mul_f32_dpp v41, v155, v41 row_newbcast:5 row_mask:0xf bank_mask:0xf// 000000004A9C: 0A5252FA FF01559B
	v_mul_f32_dpp v42, v155, v42 row_newbcast:6 row_mask:0xf bank_mask:0xf// 000000004AA4: 0A5454FA FF01569B
	v_mul_f32_dpp v43, v155, v43 row_newbcast:7 row_mask:0xf bank_mask:0xf// 000000004AAC: 0A5656FA FF01579B
	v_pk_mul_f32 v[44:45], v[152:153], v[44:45]                // 000000004AB4: D3B1402C 18025998
	v_pk_mul_f32 v[46:47], v[152:153], v[46:47]                // 000000004ABC: D3B1402E 18025D98
	v_mul_f32_dpp v44, v155, v44 row_newbcast:8 row_mask:0xf bank_mask:0xf// 000000004AC4: 0A5858FA FF01589B
	v_mul_f32_dpp v45, v155, v45 row_newbcast:9 row_mask:0xf bank_mask:0xf// 000000004ACC: 0A5A5AFA FF01599B
	v_mul_f32_dpp v46, v155, v46 row_newbcast:10 row_mask:0xf bank_mask:0xf// 000000004AD4: 0A5C5CFA FF015A9B
	v_mul_f32_dpp v47, v155, v47 row_newbcast:11 row_mask:0xf bank_mask:0xf// 000000004ADC: 0A5E5EFA FF015B9B
	v_pk_mul_f32 v[48:49], v[152:153], v[48:49]                // 000000004AE4: D3B14030 18026198
	v_pk_mul_f32 v[50:51], v[152:153], v[50:51]                // 000000004AEC: D3B14032 18026598
	v_mul_f32_dpp v48, v155, v48 row_newbcast:12 row_mask:0xf bank_mask:0xf// 000000004AF4: 0A6060FA FF015C9B
	v_mul_f32_dpp v49, v155, v49 row_newbcast:13 row_mask:0xf bank_mask:0xf// 000000004AFC: 0A6262FA FF015D9B
	v_mul_f32_dpp v50, v155, v50 row_newbcast:14 row_mask:0xf bank_mask:0xf// 000000004B04: 0A6464FA FF015E9B
	v_mul_f32_dpp v51, v155, v51 row_newbcast:15 row_mask:0xf bank_mask:0xf// 000000004B0C: 0A6666FA FF015F9B
	v_mov_b32_e32 v182, v4                                     // 000000004B14: 7F6C0304
	v_max3_f32 v182, v4, v5, v182                              // 000000004B18: D1D300B6 06DA0B04
	v_max3_f32 v182, v6, v7, v182                              // 000000004B20: D1D300B6 06DA0F06
	v_max3_f32 v182, v8, v9, v182                              // 000000004B28: D1D300B6 06DA1308
	v_max3_f32 v182, v10, v11, v182                            // 000000004B30: D1D300B6 06DA170A
	v_max3_f32 v182, v12, v13, v182                            // 000000004B38: D1D300B6 06DA1B0C
	v_max3_f32 v182, v14, v15, v182                            // 000000004B40: D1D300B6 06DA1F0E
	v_max3_f32 v182, v16, v17, v182                            // 000000004B48: D1D300B6 06DA2310
	v_max3_f32 v182, v18, v19, v182                            // 000000004B50: D1D300B6 06DA2712
	v_mov_b32_e32 v183, v20                                    // 000000004B58: 7F6E0314
	v_max3_f32 v183, v20, v21, v183                            // 000000004B5C: D1D300B7 06DE2B14
	v_max3_f32 v183, v22, v23, v183                            // 000000004B64: D1D300B7 06DE2F16
	v_max3_f32 v183, v24, v25, v183                            // 000000004B6C: D1D300B7 06DE3318
	v_max3_f32 v183, v26, v27, v183                            // 000000004B74: D1D300B7 06DE371A
	v_max3_f32 v183, v28, v29, v183                            // 000000004B7C: D1D300B7 06DE3B1C
	v_max3_f32 v183, v30, v31, v183                            // 000000004B84: D1D300B7 06DE3F1E
	v_max3_f32 v183, v32, v33, v183                            // 000000004B8C: D1D300B7 06DE4320
	v_max3_f32 v183, v34, v35, v183                            // 000000004B94: D1D300B7 06DE4722
	v_mov_b32_e32 v184, v36                                    // 000000004B9C: 7F700324
	v_max3_f32 v184, v36, v37, v184                            // 000000004BA0: D1D300B8 06E24B24
	v_max3_f32 v184, v38, v39, v184                            // 000000004BA8: D1D300B8 06E24F26
	v_max3_f32 v184, v40, v41, v184                            // 000000004BB0: D1D300B8 06E25328
	v_max3_f32 v184, v42, v43, v184                            // 000000004BB8: D1D300B8 06E2572A
	v_max3_f32 v184, v44, v45, v184                            // 000000004BC0: D1D300B8 06E25B2C
	v_max3_f32 v184, v46, v47, v184                            // 000000004BC8: D1D300B8 06E25F2E
	v_max3_f32 v184, v48, v49, v184                            // 000000004BD0: D1D300B8 06E26330
	v_max3_f32 v184, v50, v51, v184                            // 000000004BD8: D1D300B8 06E26732
	ds_bpermute_b32 v188, v208, v182                           // 000000004BE0: D87E0000 BC00B6D0
	ds_bpermute_b32 v189, v209, v182                           // 000000004BE8: D87E0000 BD00B6D1
	ds_bpermute_b32 v190, v210, v182                           // 000000004BF0: D87E0000 BE00B6D2
	ds_bpermute_b32 v191, v208, v183                           // 000000004BF8: D87E0000 BF00B7D0
	ds_bpermute_b32 v192, v209, v183                           // 000000004C00: D87E0000 C000B7D1
	ds_bpermute_b32 v193, v210, v183                           // 000000004C08: D87E0000 C100B7D2
	ds_bpermute_b32 v194, v208, v184                           // 000000004C10: D87E0000 C200B8D0
	ds_bpermute_b32 v195, v209, v184                           // 000000004C18: D87E0000 C300B8D1
	ds_bpermute_b32 v196, v210, v184                           // 000000004C20: D87E0000 C400B8D2
	v_pk_mul_f32 v[124:125], v[170:171], v[124:125]            // 000000004C28: D3B1407C 1802F9AA
	v_pk_mul_f32 v[126:127], v[170:171], v[126:127]            // 000000004C30: D3B1407E 1802FDAA
	v_pk_mul_f32 v[128:129], v[170:171], v[128:129]            // 000000004C38: D3B14080 180301AA
	v_pk_mul_f32 v[130:131], v[170:171], v[130:131]            // 000000004C40: D3B14082 180305AA
	v_pk_mul_f32 v[132:133], v[172:173], v[132:133]            // 000000004C48: D3B14084 180309AC
	v_pk_mul_f32 v[134:135], v[172:173], v[134:135]            // 000000004C50: D3B14086 18030DAC
	v_pk_mul_f32 v[136:137], v[172:173], v[136:137]            // 000000004C58: D3B14088 180311AC
	v_pk_mul_f32 v[138:139], v[172:173], v[138:139]            // 000000004C60: D3B1408A 180315AC
	v_pk_mul_f32 v[140:141], v[174:175], v[140:141]            // 000000004C68: D3B1408C 180319AE
	v_pk_mul_f32 v[142:143], v[174:175], v[142:143]            // 000000004C70: D3B1408E 18031DAE
	v_pk_mul_f32 v[144:145], v[174:175], v[144:145]            // 000000004C78: D3B14090 180321AE
	v_pk_mul_f32 v[146:147], v[174:175], v[146:147]            // 000000004C80: D3B14092 180325AE
	s_waitcnt lgkmcnt(6)                                       // 000000004C88: BF8CC67F
	v_max3_f32 v182, v188, v189, v182                          // 000000004C8C: D1D300B6 06DB7BBC
	v_max_f32_e32 v182, v190, v182                             // 000000004C94: 176D6DBE
	s_waitcnt lgkmcnt(3)                                       // 000000004C98: BF8CC37F
	v_max3_f32 v183, v191, v192, v183                          // 000000004C9C: D1D300B7 06DF81BF
	v_max_f32_e32 v183, v193, v183                             // 000000004CA4: 176F6FC1
	s_waitcnt lgkmcnt(0)                                       // 000000004CA8: BF8CC07F
	v_max3_f32 v184, v194, v195, v184                          // 000000004CAC: D1D300B8 06E387C2
	v_max_f32_e32 v184, v196, v184                             // 000000004CB4: 177171C4
	ds_write_b128 v249, v[182:185]                             // 000000004CB8: D9BE0000 0000B6F9
	s_waitcnt lgkmcnt(0)                                       // 000000004CC0: BF8CC07F
	s_barrier                                                  // 000000004CC4: BF8A0000
	ds_read_b128 v[188:191], v250                              // 000000004CC8: D9FE0000 BC0000FA
	ds_read_b128 v[192:195], v250 offset:256                   // 000000004CD0: D9FE0100 C00000FA
	ds_read_b128 v[196:199], v250 offset:512                   // 000000004CD8: D9FE0200 C40000FA
	ds_read_b128 v[200:203], v250 offset:768                   // 000000004CE0: D9FE0300 C80000FA
	v_pk_mul_f32 v[100:101], v[158:159], v[100:101]            // 000000004CE8: D3B14064 1802C99E
	v_pk_mul_f32 v[102:103], v[158:159], v[102:103]            // 000000004CF0: D3B14066 1802CD9E
	v_pk_mul_f32 v[104:105], v[158:159], v[104:105]            // 000000004CF8: D3B14068 1802D19E
	v_pk_mul_f32 v[106:107], v[158:159], v[106:107]            // 000000004D00: D3B1406A 1802D59E
	v_pk_mul_f32 v[108:109], v[160:161], v[108:109]            // 000000004D08: D3B1406C 1802D9A0
	v_pk_mul_f32 v[110:111], v[160:161], v[110:111]            // 000000004D10: D3B1406E 1802DDA0
	v_pk_mul_f32 v[112:113], v[160:161], v[112:113]            // 000000004D18: D3B14070 1802E1A0
	v_pk_mul_f32 v[114:115], v[160:161], v[114:115]            // 000000004D20: D3B14072 1802E5A0
	v_pk_mul_f32 v[116:117], v[162:163], v[116:117]            // 000000004D28: D3B14074 1802E9A2
	v_pk_mul_f32 v[118:119], v[162:163], v[118:119]            // 000000004D30: D3B14076 1802EDA2
	v_pk_mul_f32 v[120:121], v[162:163], v[120:121]            // 000000004D38: D3B14078 1802F1A2
	v_pk_mul_f32 v[122:123], v[162:163], v[122:123]            // 000000004D40: D3B1407A 1802F5A2
	s_waitcnt lgkmcnt(0)                                       // 000000004D48: BF8CC07F
	v_max3_f32 v182, v188, v192, v182                          // 000000004D4C: D1D300B6 06DB81BC
	v_max3_f32 v183, v189, v193, v183                          // 000000004D54: D1D300B7 06DF83BD
	v_max3_f32 v184, v190, v194, v184                          // 000000004D5C: D1D300B8 06E385BE
	v_max3_f32 v182, v196, v200, v182                          // 000000004D64: D1D300B6 06DB91C4
	v_max3_f32 v183, v197, v201, v183                          // 000000004D6C: D1D300B7 06DF93C5
	v_max3_f32 v184, v198, v202, v184                          // 000000004D74: D1D300B8 06E395C6
	v_max_f32_e32 v167, v182, v164                             // 000000004D7C: 174F49B6
	v_mul_f32_e64 v204, -s46, v167                             // 000000004D80: D10500CC 20034E2E
	v_mov_b32_e32 v205, v204                                   // 000000004D88: 7F9A03CC
	v_pk_fma_f32 v[4:5], v[4:5], s[46:47], v[204:205]          // 000000004D8C: D3B04004 1F305D04
	v_pk_fma_f32 v[6:7], v[6:7], s[46:47], v[204:205]          // 000000004D94: D3B04006 1F305D06
	v_exp_f32_e32 v4, v4                                       // 000000004D9C: 7E084104
	v_exp_f32_e32 v5, v5                                       // 000000004DA0: 7E0A4105
	v_exp_f32_e32 v6, v6                                       // 000000004DA4: 7E0C4106
	v_exp_f32_e32 v7, v7                                       // 000000004DA8: 7E0E4107
	v_pk_fma_f32 v[8:9], v[8:9], s[46:47], v[204:205]          // 000000004DAC: D3B04008 1F305D08
	v_pk_fma_f32 v[10:11], v[10:11], s[46:47], v[204:205]      // 000000004DB4: D3B0400A 1F305D0A
	v_exp_f32_e32 v8, v8                                       // 000000004DBC: 7E104108
	v_exp_f32_e32 v9, v9                                       // 000000004DC0: 7E124109
	v_exp_f32_e32 v10, v10                                     // 000000004DC4: 7E14410A
	v_exp_f32_e32 v11, v11                                     // 000000004DC8: 7E16410B
	v_pk_fma_f32 v[12:13], v[12:13], s[46:47], v[204:205]      // 000000004DCC: D3B0400C 1F305D0C
	v_pk_fma_f32 v[14:15], v[14:15], s[46:47], v[204:205]      // 000000004DD4: D3B0400E 1F305D0E
	v_exp_f32_e32 v12, v12                                     // 000000004DDC: 7E18410C
	v_exp_f32_e32 v13, v13                                     // 000000004DE0: 7E1A410D
	v_exp_f32_e32 v14, v14                                     // 000000004DE4: 7E1C410E
	v_exp_f32_e32 v15, v15                                     // 000000004DE8: 7E1E410F
	v_pk_fma_f32 v[16:17], v[16:17], s[46:47], v[204:205]      // 000000004DEC: D3B04010 1F305D10
	v_pk_fma_f32 v[18:19], v[18:19], s[46:47], v[204:205]      // 000000004DF4: D3B04012 1F305D12
	v_exp_f32_e32 v16, v16                                     // 000000004DFC: 7E204110
	v_exp_f32_e32 v17, v17                                     // 000000004E00: 7E224111
	v_exp_f32_e32 v18, v18                                     // 000000004E04: 7E244112
	v_exp_f32_e32 v19, v19                                     // 000000004E08: 7E264113
	v_max_f32_e32 v168, v183, v165                             // 000000004E0C: 17514BB7
	v_mul_f32_e64 v204, -s46, v168                             // 000000004E10: D10500CC 2003502E
	v_mov_b32_e32 v205, v204                                   // 000000004E18: 7F9A03CC
	v_pk_fma_f32 v[20:21], v[20:21], s[46:47], v[204:205]      // 000000004E1C: D3B04014 1F305D14
	v_pk_fma_f32 v[22:23], v[22:23], s[46:47], v[204:205]      // 000000004E24: D3B04016 1F305D16
	v_exp_f32_e32 v20, v20                                     // 000000004E2C: 7E284114
	v_exp_f32_e32 v21, v21                                     // 000000004E30: 7E2A4115
	v_exp_f32_e32 v22, v22                                     // 000000004E34: 7E2C4116
	v_exp_f32_e32 v23, v23                                     // 000000004E38: 7E2E4117
	v_pk_fma_f32 v[24:25], v[24:25], s[46:47], v[204:205]      // 000000004E3C: D3B04018 1F305D18
	v_pk_fma_f32 v[26:27], v[26:27], s[46:47], v[204:205]      // 000000004E44: D3B0401A 1F305D1A
	v_exp_f32_e32 v24, v24                                     // 000000004E4C: 7E304118
	v_exp_f32_e32 v25, v25                                     // 000000004E50: 7E324119
	v_exp_f32_e32 v26, v26                                     // 000000004E54: 7E34411A
	v_exp_f32_e32 v27, v27                                     // 000000004E58: 7E36411B
	v_pk_fma_f32 v[28:29], v[28:29], s[46:47], v[204:205]      // 000000004E5C: D3B0401C 1F305D1C
	v_pk_fma_f32 v[30:31], v[30:31], s[46:47], v[204:205]      // 000000004E64: D3B0401E 1F305D1E
	v_exp_f32_e32 v28, v28                                     // 000000004E6C: 7E38411C
	v_exp_f32_e32 v29, v29                                     // 000000004E70: 7E3A411D
	v_exp_f32_e32 v30, v30                                     // 000000004E74: 7E3C411E
	v_exp_f32_e32 v31, v31                                     // 000000004E78: 7E3E411F
	v_pk_fma_f32 v[32:33], v[32:33], s[46:47], v[204:205]      // 000000004E7C: D3B04020 1F305D20
	v_pk_fma_f32 v[34:35], v[34:35], s[46:47], v[204:205]      // 000000004E84: D3B04022 1F305D22
	v_exp_f32_e32 v32, v32                                     // 000000004E8C: 7E404120
	v_exp_f32_e32 v33, v33                                     // 000000004E90: 7E424121
	v_exp_f32_e32 v34, v34                                     // 000000004E94: 7E444122
	v_exp_f32_e32 v35, v35                                     // 000000004E98: 7E464123
	v_max_f32_e32 v169, v184, v166                             // 000000004E9C: 17534DB8
	v_mul_f32_e64 v204, -s46, v169                             // 000000004EA0: D10500CC 2003522E
	v_mov_b32_e32 v205, v204                                   // 000000004EA8: 7F9A03CC
	v_pk_fma_f32 v[36:37], v[36:37], s[46:47], v[204:205]      // 000000004EAC: D3B04024 1F305D24
	v_pk_fma_f32 v[38:39], v[38:39], s[46:47], v[204:205]      // 000000004EB4: D3B04026 1F305D26
	v_exp_f32_e32 v36, v36                                     // 000000004EBC: 7E484124
	v_exp_f32_e32 v37, v37                                     // 000000004EC0: 7E4A4125
	v_exp_f32_e32 v38, v38                                     // 000000004EC4: 7E4C4126
	v_exp_f32_e32 v39, v39                                     // 000000004EC8: 7E4E4127
	v_pk_fma_f32 v[40:41], v[40:41], s[46:47], v[204:205]      // 000000004ECC: D3B04028 1F305D28
	v_pk_fma_f32 v[42:43], v[42:43], s[46:47], v[204:205]      // 000000004ED4: D3B0402A 1F305D2A
	v_exp_f32_e32 v40, v40                                     // 000000004EDC: 7E504128
	v_exp_f32_e32 v41, v41                                     // 000000004EE0: 7E524129
	v_exp_f32_e32 v42, v42                                     // 000000004EE4: 7E54412A
	v_exp_f32_e32 v43, v43                                     // 000000004EE8: 7E56412B
	v_pk_fma_f32 v[44:45], v[44:45], s[46:47], v[204:205]      // 000000004EEC: D3B0402C 1F305D2C
	v_pk_fma_f32 v[46:47], v[46:47], s[46:47], v[204:205]      // 000000004EF4: D3B0402E 1F305D2E
	v_exp_f32_e32 v44, v44                                     // 000000004EFC: 7E58412C
	v_exp_f32_e32 v45, v45                                     // 000000004F00: 7E5A412D
	v_exp_f32_e32 v46, v46                                     // 000000004F04: 7E5C412E
	v_exp_f32_e32 v47, v47                                     // 000000004F08: 7E5E412F
	v_pk_fma_f32 v[48:49], v[48:49], s[46:47], v[204:205]      // 000000004F0C: D3B04030 1F305D30
	v_pk_fma_f32 v[50:51], v[50:51], s[46:47], v[204:205]      // 000000004F14: D3B04032 1F305D32
	v_exp_f32_e32 v48, v48                                     // 000000004F1C: 7E604130
	v_exp_f32_e32 v49, v49                                     // 000000004F20: 7E624131
	v_exp_f32_e32 v50, v50                                     // 000000004F24: 7E644132
	v_exp_f32_e32 v51, v51                                     // 000000004F28: 7E664133
	v_mul_f32_dpp v52, v157, v4 row_newbcast:0 row_mask:0xf bank_mask:0xf// 000000004F2C: 0A6808FA FF01509D
	v_mul_f32_dpp v53, v157, v5 row_newbcast:1 row_mask:0xf bank_mask:0xf// 000000004F34: 0A6A0AFA FF01519D
	v_mul_f32_dpp v54, v157, v6 row_newbcast:2 row_mask:0xf bank_mask:0xf// 000000004F3C: 0A6C0CFA FF01529D
	v_mul_f32_dpp v55, v157, v7 row_newbcast:3 row_mask:0xf bank_mask:0xf// 000000004F44: 0A6E0EFA FF01539D
	v_mul_f32_dpp v56, v157, v8 row_newbcast:4 row_mask:0xf bank_mask:0xf// 000000004F4C: 0A7010FA FF01549D
	v_mul_f32_dpp v57, v157, v9 row_newbcast:5 row_mask:0xf bank_mask:0xf// 000000004F54: 0A7212FA FF01559D
	v_mul_f32_dpp v58, v157, v10 row_newbcast:6 row_mask:0xf bank_mask:0xf// 000000004F5C: 0A7414FA FF01569D
	v_mul_f32_dpp v59, v157, v11 row_newbcast:7 row_mask:0xf bank_mask:0xf// 000000004F64: 0A7616FA FF01579D
	v_mul_f32_dpp v60, v157, v12 row_newbcast:8 row_mask:0xf bank_mask:0xf// 000000004F6C: 0A7818FA FF01589D
	v_mul_f32_dpp v61, v157, v13 row_newbcast:9 row_mask:0xf bank_mask:0xf// 000000004F74: 0A7A1AFA FF01599D
	v_mul_f32_dpp v62, v157, v14 row_newbcast:10 row_mask:0xf bank_mask:0xf// 000000004F7C: 0A7C1CFA FF015A9D
	v_mul_f32_dpp v63, v157, v15 row_newbcast:11 row_mask:0xf bank_mask:0xf// 000000004F84: 0A7E1EFA FF015B9D
	v_mul_f32_dpp v64, v157, v16 row_newbcast:12 row_mask:0xf bank_mask:0xf// 000000004F8C: 0A8020FA FF015C9D
	v_mul_f32_dpp v65, v157, v17 row_newbcast:13 row_mask:0xf bank_mask:0xf// 000000004F94: 0A8222FA FF015D9D
	v_mul_f32_dpp v66, v157, v18 row_newbcast:14 row_mask:0xf bank_mask:0xf// 000000004F9C: 0A8424FA FF015E9D
	v_mul_f32_dpp v67, v157, v19 row_newbcast:15 row_mask:0xf bank_mask:0xf// 000000004FA4: 0A8626FA FF015F9D
	v_mul_f32_dpp v68, v157, v20 row_newbcast:0 row_mask:0xf bank_mask:0xf// 000000004FAC: 0A8828FA FF01509D
	v_mul_f32_dpp v69, v157, v21 row_newbcast:1 row_mask:0xf bank_mask:0xf// 000000004FB4: 0A8A2AFA FF01519D
	v_mul_f32_dpp v70, v157, v22 row_newbcast:2 row_mask:0xf bank_mask:0xf// 000000004FBC: 0A8C2CFA FF01529D
	v_mul_f32_dpp v71, v157, v23 row_newbcast:3 row_mask:0xf bank_mask:0xf// 000000004FC4: 0A8E2EFA FF01539D
	v_mul_f32_dpp v72, v157, v24 row_newbcast:4 row_mask:0xf bank_mask:0xf// 000000004FCC: 0A9030FA FF01549D
	v_mul_f32_dpp v73, v157, v25 row_newbcast:5 row_mask:0xf bank_mask:0xf// 000000004FD4: 0A9232FA FF01559D
	v_mul_f32_dpp v74, v157, v26 row_newbcast:6 row_mask:0xf bank_mask:0xf// 000000004FDC: 0A9434FA FF01569D
	v_mul_f32_dpp v75, v157, v27 row_newbcast:7 row_mask:0xf bank_mask:0xf// 000000004FE4: 0A9636FA FF01579D
	v_mul_f32_dpp v76, v157, v28 row_newbcast:8 row_mask:0xf bank_mask:0xf// 000000004FEC: 0A9838FA FF01589D
	v_mul_f32_dpp v77, v157, v29 row_newbcast:9 row_mask:0xf bank_mask:0xf// 000000004FF4: 0A9A3AFA FF01599D
	v_mul_f32_dpp v78, v157, v30 row_newbcast:10 row_mask:0xf bank_mask:0xf// 000000004FFC: 0A9C3CFA FF015A9D
	v_mul_f32_dpp v79, v157, v31 row_newbcast:11 row_mask:0xf bank_mask:0xf// 000000005004: 0A9E3EFA FF015B9D
	v_mul_f32_dpp v80, v157, v32 row_newbcast:12 row_mask:0xf bank_mask:0xf// 00000000500C: 0AA040FA FF015C9D
	v_mul_f32_dpp v81, v157, v33 row_newbcast:13 row_mask:0xf bank_mask:0xf// 000000005014: 0AA242FA FF015D9D
	v_mul_f32_dpp v82, v157, v34 row_newbcast:14 row_mask:0xf bank_mask:0xf// 00000000501C: 0AA444FA FF015E9D
	v_mul_f32_dpp v83, v157, v35 row_newbcast:15 row_mask:0xf bank_mask:0xf// 000000005024: 0AA646FA FF015F9D
	v_mul_f32_dpp v84, v157, v36 row_newbcast:0 row_mask:0xf bank_mask:0xf// 00000000502C: 0AA848FA FF01509D
	v_mul_f32_dpp v85, v157, v37 row_newbcast:1 row_mask:0xf bank_mask:0xf// 000000005034: 0AAA4AFA FF01519D
	v_mul_f32_dpp v86, v157, v38 row_newbcast:2 row_mask:0xf bank_mask:0xf// 00000000503C: 0AAC4CFA FF01529D
	v_mul_f32_dpp v87, v157, v39 row_newbcast:3 row_mask:0xf bank_mask:0xf// 000000005044: 0AAE4EFA FF01539D
	v_mul_f32_dpp v88, v157, v40 row_newbcast:4 row_mask:0xf bank_mask:0xf// 00000000504C: 0AB050FA FF01549D
	v_mul_f32_dpp v89, v157, v41 row_newbcast:5 row_mask:0xf bank_mask:0xf// 000000005054: 0AB252FA FF01559D
	v_mul_f32_dpp v90, v157, v42 row_newbcast:6 row_mask:0xf bank_mask:0xf// 00000000505C: 0AB454FA FF01569D
	v_mul_f32_dpp v91, v157, v43 row_newbcast:7 row_mask:0xf bank_mask:0xf// 000000005064: 0AB656FA FF01579D
	v_mul_f32_dpp v92, v157, v44 row_newbcast:8 row_mask:0xf bank_mask:0xf// 00000000506C: 0AB858FA FF01589D
	v_mul_f32_dpp v93, v157, v45 row_newbcast:9 row_mask:0xf bank_mask:0xf// 000000005074: 0ABA5AFA FF01599D
	v_mul_f32_dpp v94, v157, v46 row_newbcast:10 row_mask:0xf bank_mask:0xf// 00000000507C: 0ABC5CFA FF015A9D
	v_mul_f32_dpp v95, v157, v47 row_newbcast:11 row_mask:0xf bank_mask:0xf// 000000005084: 0ABE5EFA FF015B9D
	v_mul_f32_dpp v96, v157, v48 row_newbcast:12 row_mask:0xf bank_mask:0xf// 00000000508C: 0AC060FA FF015C9D
	v_mul_f32_dpp v97, v157, v49 row_newbcast:13 row_mask:0xf bank_mask:0xf// 000000005094: 0AC262FA FF015D9D
	v_mul_f32_dpp v98, v157, v50 row_newbcast:14 row_mask:0xf bank_mask:0xf// 00000000509C: 0AC464FA FF015E9D
	v_mul_f32_dpp v99, v157, v51 row_newbcast:15 row_mask:0xf bank_mask:0xf// 0000000050A4: 0AC666FA FF015F9D
	buffer_load_dword v154, v235, s[20:23], 0 offen            // 0000000050AC: E0501000 80059AEB
	v_sub_f32_e32 v170, v164, v167                             // 0000000050B4: 05554FA4
	v_cmp_eq_u32_e64 s[98:99], v222, v164                      // 0000000050B8: D0CA0062 000349DE
	v_cndmask_b32_e64 v170, v170, 0, s[98:99]                  // 0000000050C0: D10000AA 018901AA
	v_mov_b32_e32 v164, v167                                   // 0000000050C8: 7F4803A7
	v_mul_f32_e32 v170, s46, v170                              // 0000000050CC: 0B55542E
	v_exp_f32_e32 v170, v170                                   // 0000000050D0: 7F5441AA
	v_sub_f32_e32 v172, v165, v168                             // 0000000050D4: 055951A5
	v_cmp_eq_u32_e64 s[98:99], v222, v165                      // 0000000050D8: D0CA0062 00034BDE
	v_cndmask_b32_e64 v172, v172, 0, s[98:99]                  // 0000000050E0: D10000AC 018901AC
	v_mov_b32_e32 v165, v168                                   // 0000000050E8: 7F4A03A8
	v_mul_f32_e32 v172, s46, v172                              // 0000000050EC: 0B59582E
	v_exp_f32_e32 v172, v172                                   // 0000000050F0: 7F5841AC
	v_sub_f32_e32 v174, v166, v169                             // 0000000050F4: 055D53A6
	v_cmp_eq_u32_e64 s[98:99], v222, v166                      // 0000000050F8: D0CA0062 00034DDE
	v_cndmask_b32_e64 v174, v174, 0, s[98:99]                  // 000000005100: D10000AE 018901AE
	v_mov_b32_e32 v166, v169                                   // 000000005108: 7F4C03A9
	v_mul_f32_e32 v174, s46, v174                              // 00000000510C: 0B5D5C2E
	v_exp_f32_e32 v174, v174                                   // 000000005110: 7F5C41AE
	v_mov_b32_e32 v171, v170                                   // 000000005114: 7F5603AA
	v_mov_b32_e32 v173, v172                                   // 000000005118: 7F5A03AC
	v_mov_b32_e32 v175, v174                                   // 00000000511C: 7F5E03AE
	s_waitcnt lgkmcnt(0)                                       // 000000005120: BF8CC07F
	s_barrier                                                  // 000000005124: BF8A0000
	buffer_load_dword v156, v236, s[24:27], 0 offen            // 000000005128: E0501000 80069CEC
	v_mul_f32_e32 v176, v170, v176                             // 000000005130: 0B6161AA
	v_mov_b32_e32 v177, 0                                      // 000000005134: 7F620280
	v_pk_add_f32 v[176:177], v[4:5], v[176:177]                // 000000005138: D3B240B0 18036104
	v_pk_add_f32 v[176:177], v[6:7], v[176:177]                // 000000005140: D3B240B0 18036106
	;; [unrolled: 1-line block ×3, first 2 shown]
	v_pk_add_f32 v[176:177], v[10:11], v[176:177]              // 000000005150: D3B240B0 1803610A
	v_pk_add_f32 v[176:177], v[12:13], v[176:177]              // 000000005158: D3B240B0 1803610C
	v_pk_add_f32 v[176:177], v[14:15], v[176:177]              // 000000005160: D3B240B0 1803610E
	v_pk_add_f32 v[176:177], v[16:17], v[176:177]              // 000000005168: D3B240B0 18036110
	v_pk_add_f32 v[176:177], v[18:19], v[176:177]              // 000000005170: D3B240B0 18036112
	v_add_f32_e32 v176, v177, v176                             // 000000005178: 036161B1
	v_mul_f32_e32 v178, v172, v178                             // 00000000517C: 0B6565AC
	v_mov_b32_e32 v179, 0                                      // 000000005180: 7F660280
	v_pk_add_f32 v[178:179], v[20:21], v[178:179]              // 000000005184: D3B240B2 18036514
	v_pk_add_f32 v[178:179], v[22:23], v[178:179]              // 00000000518C: D3B240B2 18036516
	v_pk_add_f32 v[178:179], v[24:25], v[178:179]              // 000000005194: D3B240B2 18036518
	v_pk_add_f32 v[178:179], v[26:27], v[178:179]              // 00000000519C: D3B240B2 1803651A
	v_pk_add_f32 v[178:179], v[28:29], v[178:179]              // 0000000051A4: D3B240B2 1803651C
	v_pk_add_f32 v[178:179], v[30:31], v[178:179]              // 0000000051AC: D3B240B2 1803651E
	v_pk_add_f32 v[178:179], v[32:33], v[178:179]              // 0000000051B4: D3B240B2 18036520
	v_pk_add_f32 v[178:179], v[34:35], v[178:179]              // 0000000051BC: D3B240B2 18036522
	v_add_f32_e32 v178, v179, v178                             // 0000000051C4: 036565B3
	v_mul_f32_e32 v180, v174, v180                             // 0000000051C8: 0B6969AE
	v_mov_b32_e32 v181, 0                                      // 0000000051CC: 7F6A0280
	v_pk_add_f32 v[180:181], v[36:37], v[180:181]              // 0000000051D0: D3B240B4 18036924
	v_pk_add_f32 v[180:181], v[38:39], v[180:181]              // 0000000051D8: D3B240B4 18036926
	v_pk_add_f32 v[180:181], v[40:41], v[180:181]              // 0000000051E0: D3B240B4 18036928
	v_pk_add_f32 v[180:181], v[42:43], v[180:181]              // 0000000051E8: D3B240B4 1803692A
	v_pk_add_f32 v[180:181], v[44:45], v[180:181]              // 0000000051F0: D3B240B4 1803692C
	v_pk_add_f32 v[180:181], v[46:47], v[180:181]              // 0000000051F8: D3B240B4 1803692E
	v_pk_add_f32 v[180:181], v[48:49], v[180:181]              // 000000005200: D3B240B4 18036930
	v_pk_add_f32 v[180:181], v[50:51], v[180:181]              // 000000005208: D3B240B4 18036932
	v_add_f32_e32 v180, v181, v180                             // 000000005210: 036969B5
	s_waitcnt lgkmcnt(0)                                       // 000000005214: BF8CC07F
	v_sub_f32_e32 v182, v182, v164                             // 000000005218: 056D49B6
	v_sub_f32_e32 v183, v183, v165                             // 00000000521C: 056F4BB7
	v_sub_f32_e32 v184, v184, v166                             // 000000005220: 05714DB8
	v_mul_f32_e32 v182, s46, v182                              // 000000005224: 0B6D6C2E
	v_mul_f32_e32 v183, s46, v183                              // 000000005228: 0B6F6E2E
	v_mul_f32_e32 v184, s46, v184                              // 00000000522C: 0B71702E
	v_exp_f32_e32 v182, v182                                   // 000000005230: 7F6C41B6
	v_exp_f32_e32 v183, v183                                   // 000000005234: 7F6E41B7
	v_exp_f32_e32 v184, v184                                   // 000000005238: 7F7041B8
	v_mul_f32_e32 v182, v157, v182                             // 00000000523C: 0B6D6D9D
	v_mul_f32_e32 v183, v157, v183                             // 000000005240: 0B6F6F9D
	v_mul_f32_e32 v184, v157, v184                             // 000000005244: 0B71719D
	v_add_f32_e32 v182, 0x3089705f, v182                       // 000000005248: 036D6CFF 3089705F
	v_add_f32_e32 v183, 0x3089705f, v183                       // 000000005250: 036F6EFF 3089705F
	v_add_f32_e32 v184, 0x3089705f, v184                       // 000000005258: 037170FF 3089705F
	v_rcp_f32_e32 v182, v182                                   // 000000005260: 7F6C45B6
	v_rcp_f32_e32 v183, v183                                   // 000000005264: 7F6E45B7
	v_rcp_f32_e32 v184, v184                                   // 000000005268: 7F7045B8
	v_mul_f32_e32 v182, 0x43700000, v182                       // 00000000526C: 0B6D6CFF 43700000
	v_mul_f32_e32 v183, 0x43700000, v183                       // 000000005274: 0B6F6EFF 43700000
	v_mul_f32_e32 v184, 0x43700000, v184                       // 00000000527C: 0B7170FF 43700000
	v_mov_b32_e32 v186, v184                                   // 000000005284: 7F7403B8
	v_mov_b32_e32 v187, v184                                   // 000000005288: 7F7603B8
	v_mov_b32_e32 v184, v183                                   // 00000000528C: 7F7003B7
	v_mov_b32_e32 v185, v183                                   // 000000005290: 7F7203B7
	v_mov_b32_e32 v183, v182                                   // 000000005294: 7F6E03B6
	v_pk_mul_f32 v[4:5], v[182:183], v[52:53]                  // 000000005298: D3B14004 180269B6
	v_pk_mul_f32 v[6:7], v[182:183], v[54:55]                  // 0000000052A0: D3B14006 18026DB6
	v_pk_mul_f32 v[8:9], v[182:183], v[56:57]                  // 0000000052A8: D3B14008 180271B6
	v_pk_mul_f32 v[10:11], v[182:183], v[58:59]                // 0000000052B0: D3B1400A 180275B6
	v_pk_mul_f32 v[12:13], v[182:183], v[60:61]                // 0000000052B8: D3B1400C 180279B6
	v_pk_mul_f32 v[14:15], v[182:183], v[62:63]                // 0000000052C0: D3B1400E 18027DB6
	v_pk_mul_f32 v[16:17], v[182:183], v[64:65]                // 0000000052C8: D3B14010 180281B6
	v_pk_mul_f32 v[18:19], v[182:183], v[66:67]                // 0000000052D0: D3B14012 180285B6
	v_pk_mul_f32 v[20:21], v[184:185], v[68:69]                // 0000000052D8: D3B14014 180289B8
	v_pk_mul_f32 v[22:23], v[184:185], v[70:71]                // 0000000052E0: D3B14016 18028DB8
	v_pk_mul_f32 v[24:25], v[184:185], v[72:73]                // 0000000052E8: D3B14018 180291B8
	v_pk_mul_f32 v[26:27], v[184:185], v[74:75]                // 0000000052F0: D3B1401A 180295B8
	v_pk_mul_f32 v[28:29], v[184:185], v[76:77]                // 0000000052F8: D3B1401C 180299B8
	v_pk_mul_f32 v[30:31], v[184:185], v[78:79]                // 000000005300: D3B1401E 18029DB8
	v_pk_mul_f32 v[32:33], v[184:185], v[80:81]                // 000000005308: D3B14020 1802A1B8
	v_pk_mul_f32 v[34:35], v[184:185], v[82:83]                // 000000005310: D3B14022 1802A5B8
	v_pk_mul_f32 v[36:37], v[186:187], v[84:85]                // 000000005318: D3B14024 1802A9BA
	v_pk_mul_f32 v[38:39], v[186:187], v[86:87]                // 000000005320: D3B14026 1802ADBA
	v_pk_mul_f32 v[40:41], v[186:187], v[88:89]                // 000000005328: D3B14028 1802B1BA
	v_pk_mul_f32 v[42:43], v[186:187], v[90:91]                // 000000005330: D3B1402A 1802B5BA
	v_pk_mul_f32 v[44:45], v[186:187], v[92:93]                // 000000005338: D3B1402C 1802B9BA
	v_pk_mul_f32 v[46:47], v[186:187], v[94:95]                // 000000005340: D3B1402E 1802BDBA
	v_pk_mul_f32 v[48:49], v[186:187], v[96:97]                // 000000005348: D3B14030 1802C1BA
	v_pk_mul_f32 v[50:51], v[186:187], v[98:99]                // 000000005350: D3B14032 1802C5BA
	v_cvt_pk_fp8_f32 v4, v4, v5                                // 000000005358: D2A20004 00020B04
	v_cvt_pk_fp8_f32 v4, v6, v7 op_sel:[0,0,1]                 // 000000005360: D2A24004 00020F06
	v_cvt_pk_fp8_f32 v5, v8, v9                                // 000000005368: D2A20005 00021308
	v_cvt_pk_fp8_f32 v5, v10, v11 op_sel:[0,0,1]               // 000000005370: D2A24005 0002170A
	v_cvt_pk_fp8_f32 v6, v12, v13                              // 000000005378: D2A20006 00021B0C
	v_cvt_pk_fp8_f32 v6, v14, v15 op_sel:[0,0,1]               // 000000005380: D2A24006 00021F0E
	v_cvt_pk_fp8_f32 v7, v16, v17                              // 000000005388: D2A20007 00022310
	v_cvt_pk_fp8_f32 v7, v18, v19 op_sel:[0,0,1]               // 000000005390: D2A24007 00022712
	v_cvt_pk_fp8_f32 v8, v20, v21                              // 000000005398: D2A20008 00022B14
	v_cvt_pk_fp8_f32 v8, v22, v23 op_sel:[0,0,1]               // 0000000053A0: D2A24008 00022F16
	v_cvt_pk_fp8_f32 v9, v24, v25                              // 0000000053A8: D2A20009 00023318
	v_cvt_pk_fp8_f32 v9, v26, v27 op_sel:[0,0,1]               // 0000000053B0: D2A24009 0002371A
	v_cvt_pk_fp8_f32 v10, v28, v29                             // 0000000053B8: D2A2000A 00023B1C
	v_cvt_pk_fp8_f32 v10, v30, v31 op_sel:[0,0,1]              // 0000000053C0: D2A2400A 00023F1E
	v_cvt_pk_fp8_f32 v11, v32, v33                             // 0000000053C8: D2A2000B 00024320
	v_cvt_pk_fp8_f32 v11, v34, v35 op_sel:[0,0,1]              // 0000000053D0: D2A2400B 00024722
	v_cvt_pk_fp8_f32 v12, v36, v37                             // 0000000053D8: D2A2000C 00024B24
	v_cvt_pk_fp8_f32 v12, v38, v39 op_sel:[0,0,1]              // 0000000053E0: D2A2400C 00024F26
	v_cvt_pk_fp8_f32 v13, v40, v41                             // 0000000053E8: D2A2000D 00025328
	v_cvt_pk_fp8_f32 v13, v42, v43 op_sel:[0,0,1]              // 0000000053F0: D2A2400D 0002572A
	v_cvt_pk_fp8_f32 v14, v44, v45                             // 0000000053F8: D2A2000E 00025B2C
	v_cvt_pk_fp8_f32 v14, v46, v47 op_sel:[0,0,1]              // 000000005400: D2A2400E 00025F2E
	v_cvt_pk_fp8_f32 v15, v48, v49                             // 000000005408: D2A2000F 00026330
	v_cvt_pk_fp8_f32 v15, v50, v51 op_sel:[0,0,1]              // 000000005410: D2A2400F 00026732
	ds_write_b32 v251, v4 offset:8192                          // 000000005418: D81A2000 000004FB
	ds_write_b32 v251, v5 offset:9216                          // 000000005420: D81A2400 000005FB
	ds_write_b32 v251, v6 offset:10240                         // 000000005428: D81A2800 000006FB
	ds_write_b32 v251, v7 offset:11264                         // 000000005430: D81A2C00 000007FB
	ds_write_b32 v251, v8 offset:12288                         // 000000005438: D81A3000 000008FB
	ds_write_b32 v251, v9 offset:13312                         // 000000005440: D81A3400 000009FB
	ds_write_b32 v251, v10 offset:14336                        // 000000005448: D81A3800 00000AFB
	ds_write_b32 v251, v11 offset:15360                        // 000000005450: D81A3C00 00000BFB
	ds_write_b32 v251, v12 offset:16384                        // 000000005458: D81A4000 00000CFB
	ds_write_b32 v251, v13 offset:17408                        // 000000005460: D81A4400 00000DFB
	ds_write_b32 v251, v14 offset:18432                        // 000000005468: D81A4800 00000EFB
	ds_write_b32 v251, v15 offset:19456                        // 000000005470: D81A4C00 00000FFB
	v_rcp_f32_e32 v158, v182                                   // 000000005478: 7F3C45B6
	v_rcp_f32_e32 v160, v184                                   // 00000000547C: 7F4045B8
	v_rcp_f32_e32 v162, v186                                   // 000000005480: 7F4445BA
	v_mov_b32_e32 v159, v158                                   // 000000005484: 7F3E039E
	v_mov_b32_e32 v161, v160                                   // 000000005488: 7F4203A0
	v_mov_b32_e32 v163, v162                                   // 00000000548C: 7F4603A2
	v_pk_add_f32 v[124:125], v[124:125], v[100:101]            // 000000005490: D3B2407C 1802C97C
	v_pk_add_f32 v[126:127], v[126:127], v[102:103]            // 000000005498: D3B2407E 1802CD7E
	v_pk_add_f32 v[128:129], v[128:129], v[104:105]            // 0000000054A0: D3B24080 1802D180
	v_pk_add_f32 v[130:131], v[130:131], v[106:107]            // 0000000054A8: D3B24082 1802D582
	v_pk_add_f32 v[132:133], v[132:133], v[108:109]            // 0000000054B0: D3B24084 1802D984
	v_pk_add_f32 v[134:135], v[134:135], v[110:111]            // 0000000054B8: D3B24086 1802DD86
	v_pk_add_f32 v[136:137], v[136:137], v[112:113]            // 0000000054C0: D3B24088 1802E188
	v_pk_add_f32 v[138:139], v[138:139], v[114:115]            // 0000000054C8: D3B2408A 1802E58A
	v_pk_add_f32 v[140:141], v[140:141], v[116:117]            // 0000000054D0: D3B2408C 1802E98C
	v_pk_add_f32 v[142:143], v[142:143], v[118:119]            // 0000000054D8: D3B2408E 1802ED8E
	v_pk_add_f32 v[144:145], v[144:145], v[120:121]            // 0000000054E0: D3B24090 1802F190
	v_pk_add_f32 v[146:147], v[146:147], v[122:123]            // 0000000054E8: D3B24092 1802F592
	s_waitcnt lgkmcnt(0)                                       // 0000000054F0: BF8CC07F
	s_barrier                                                  // 0000000054F4: BF8A0000
	ds_read_b128 v[4:7], v252 offset:8192                      // 0000000054F8: D9FE2000 040000FC
	ds_read_b128 v[8:11], v252 offset:9216                     // 000000005500: D9FE2400 080000FC
	ds_read_b128 v[12:15], v252 offset:10240                   // 000000005508: D9FE2800 0C0000FC
	ds_read_b128 v[16:19], v252 offset:11264                   // 000000005510: D9FE2C00 100000FC
	ds_read_b128 v[20:23], v252 offset:12288                   // 000000005518: D9FE3000 140000FC
	ds_read_b128 v[24:27], v252 offset:13312                   // 000000005520: D9FE3400 180000FC
	ds_read_b128 v[28:31], v252 offset:14336                   // 000000005528: D9FE3800 1C0000FC
	ds_read_b128 v[32:35], v252 offset:15360                   // 000000005530: D9FE3C00 200000FC
	ds_read_b128 v[36:39], v252 offset:16384                   // 000000005538: D9FE4000 240000FC
	ds_read_b128 v[40:43], v252 offset:17408                   // 000000005540: D9FE4400 280000FC
	ds_read_b128 v[44:47], v252 offset:18432                   // 000000005548: D9FE4800 2C0000FC
	ds_read_b128 v[48:51], v252 offset:19456                   // 000000005550: D9FE4C00 300000FC
	s_waitcnt vmcnt(10)                                        // 000000005558: BF8C0F7A
	s_waitcnt lgkmcnt(11)                                      // 00000000555C: BF8CCB7F
	v_mfma_f32_16x16x32_fp8_fp8 v[100:103], a[120:121], v[4:5], 0// 000000005560: D3F30064 0A020978
	v_mfma_f32_16x16x32_fp8_fp8 v[104:107], a[136:137], v[4:5], 0// 000000005568: D3F30068 0A020988
	v_mfma_f32_16x16x32_fp8_fp8 v[100:103], a[122:123], v[6:7], v[100:103]// 000000005570: D3F30064 0D920D7A
	buffer_load_dwordx4 a[88:91], v231, s[16:19], 0 offen      // 000000005578: E05C1000 808458E7
	v_mfma_f32_16x16x32_fp8_fp8 v[104:107], a[138:139], v[6:7], v[104:107]// 000000005580: D3F30068 0DA20D8A
	s_waitcnt lgkmcnt(10)                                      // 000000005588: BF8CCA7F
	v_mfma_f32_16x16x32_fp8_fp8 v[100:103], a[124:125], v[8:9], v[100:103]// 00000000558C: D3F30064 0D92117C
	v_mfma_f32_16x16x32_fp8_fp8 v[104:107], a[140:141], v[8:9], v[104:107]// 000000005594: D3F30068 0DA2118C
	v_mfma_f32_16x16x32_fp8_fp8 v[100:103], a[126:127], v[10:11], v[100:103]// 00000000559C: D3F30064 0D92157E
	buffer_load_dwordx4 a[92:95], v232, s[16:19], 0 offen      // 0000000055A4: E05C1000 80845CE8
	v_mfma_f32_16x16x32_fp8_fp8 v[104:107], a[142:143], v[10:11], v[104:107]// 0000000055AC: D3F30068 0DA2158E
	s_waitcnt lgkmcnt(9)                                       // 0000000055B4: BF8CC97F
	v_mfma_f32_16x16x32_fp8_fp8 v[100:103], a[128:129], v[12:13], v[100:103]// 0000000055B8: D3F30064 0D921980
	v_mfma_f32_16x16x32_fp8_fp8 v[104:107], a[144:145], v[12:13], v[104:107]// 0000000055C0: D3F30068 0DA21990
	v_mfma_f32_16x16x32_fp8_fp8 v[100:103], a[130:131], v[14:15], v[100:103]// 0000000055C8: D3F30064 0D921D82
	buffer_load_dwordx4 a[96:99], v233, s[16:19], 0 offen      // 0000000055D0: E05C1000 808460E9
	v_mfma_f32_16x16x32_fp8_fp8 v[104:107], a[146:147], v[14:15], v[104:107]// 0000000055D8: D3F30068 0DA21D92
	s_waitcnt lgkmcnt(8)                                       // 0000000055E0: BF8CC87F
	v_mfma_f32_16x16x32_fp8_fp8 v[100:103], a[132:133], v[16:17], v[100:103]// 0000000055E4: D3F30064 0D922184
	v_mfma_f32_16x16x32_fp8_fp8 v[104:107], a[148:149], v[16:17], v[104:107]// 0000000055EC: D3F30068 0DA22194
	v_mfma_f32_16x16x32_fp8_fp8 v[100:103], a[134:135], v[18:19], v[100:103]// 0000000055F4: D3F30064 0D922586
	buffer_load_dwordx4 a[100:103], v234, s[16:19], 0 offen    // 0000000055FC: E05C1000 808464EA
	v_mfma_f32_16x16x32_fp8_fp8 v[104:107], a[150:151], v[18:19], v[104:107]// 000000005604: D3F30068 0DA22596
	s_waitcnt lgkmcnt(7)                                       // 00000000560C: BF8CC77F
	v_mfma_f32_16x16x32_fp8_fp8 v[108:111], a[120:121], v[20:21], 0// 000000005610: D3F3006C 0A022978
	v_mfma_f32_16x16x32_fp8_fp8 v[112:115], a[136:137], v[20:21], 0// 000000005618: D3F30070 0A022988
	v_mfma_f32_16x16x32_fp8_fp8 v[108:111], a[122:123], v[22:23], v[108:111]// 000000005620: D3F3006C 0DB22D7A
	buffer_load_dwordx4 a[104:107], v231, s[16:19], 0 offen offset:1024// 000000005628: E05C1400 808468E7
	v_mfma_f32_16x16x32_fp8_fp8 v[112:115], a[138:139], v[22:23], v[112:115]// 000000005630: D3F30070 0DC22D8A
	s_waitcnt lgkmcnt(6)                                       // 000000005638: BF8CC67F
	v_mfma_f32_16x16x32_fp8_fp8 v[108:111], a[124:125], v[24:25], v[108:111]// 00000000563C: D3F3006C 0DB2317C
	v_mfma_f32_16x16x32_fp8_fp8 v[112:115], a[140:141], v[24:25], v[112:115]// 000000005644: D3F30070 0DC2318C
	v_mfma_f32_16x16x32_fp8_fp8 v[108:111], a[126:127], v[26:27], v[108:111]// 00000000564C: D3F3006C 0DB2357E
	buffer_load_dwordx4 a[108:111], v232, s[16:19], 0 offen offset:1024// 000000005654: E05C1400 80846CE8
	v_mfma_f32_16x16x32_fp8_fp8 v[112:115], a[142:143], v[26:27], v[112:115]// 00000000565C: D3F30070 0DC2358E
	s_waitcnt lgkmcnt(5)                                       // 000000005664: BF8CC57F
	v_mfma_f32_16x16x32_fp8_fp8 v[108:111], a[128:129], v[28:29], v[108:111]// 000000005668: D3F3006C 0DB23980
	v_mfma_f32_16x16x32_fp8_fp8 v[112:115], a[144:145], v[28:29], v[112:115]// 000000005670: D3F30070 0DC23990
	v_mfma_f32_16x16x32_fp8_fp8 v[108:111], a[130:131], v[30:31], v[108:111]// 000000005678: D3F3006C 0DB23D82
	buffer_load_dwordx4 a[112:115], v233, s[16:19], 0 offen offset:1024// 000000005680: E05C1400 808470E9
	v_mfma_f32_16x16x32_fp8_fp8 v[112:115], a[146:147], v[30:31], v[112:115]// 000000005688: D3F30070 0DC23D92
	s_waitcnt lgkmcnt(4)                                       // 000000005690: BF8CC47F
	v_mfma_f32_16x16x32_fp8_fp8 v[108:111], a[132:133], v[32:33], v[108:111]// 000000005694: D3F3006C 0DB24184
	v_mfma_f32_16x16x32_fp8_fp8 v[112:115], a[148:149], v[32:33], v[112:115]// 00000000569C: D3F30070 0DC24194
	v_mfma_f32_16x16x32_fp8_fp8 v[108:111], a[134:135], v[34:35], v[108:111]// 0000000056A4: D3F3006C 0DB24586
	buffer_load_dwordx4 a[116:119], v234, s[16:19], 0 offen offset:1024// 0000000056AC: E05C1400 808474EA
	v_mfma_f32_16x16x32_fp8_fp8 v[112:115], a[150:151], v[34:35], v[112:115]// 0000000056B4: D3F30070 0DC24596
	s_waitcnt lgkmcnt(3)                                       // 0000000056BC: BF8CC37F
	v_mfma_f32_16x16x32_fp8_fp8 v[116:119], a[120:121], v[36:37], 0// 0000000056C0: D3F30074 0A024978
	v_mfma_f32_16x16x32_fp8_fp8 v[120:123], a[136:137], v[36:37], 0// 0000000056C8: D3F30078 0A024988
	v_mfma_f32_16x16x32_fp8_fp8 v[116:119], a[122:123], v[38:39], v[116:119]// 0000000056D0: D3F30074 0DD24D7A
	v_mfma_f32_16x16x32_fp8_fp8 v[120:123], a[138:139], v[38:39], v[120:123]// 0000000056D8: D3F30078 0DE24D8A
	s_waitcnt lgkmcnt(2)                                       // 0000000056E0: BF8CC27F
	v_mfma_f32_16x16x32_fp8_fp8 v[116:119], a[124:125], v[40:41], v[116:119]// 0000000056E4: D3F30074 0DD2517C
	v_mfma_f32_16x16x32_fp8_fp8 v[120:123], a[140:141], v[40:41], v[120:123]// 0000000056EC: D3F30078 0DE2518C
	v_mfma_f32_16x16x32_fp8_fp8 v[116:119], a[126:127], v[42:43], v[116:119]// 0000000056F4: D3F30074 0DD2557E
	v_mfma_f32_16x16x32_fp8_fp8 v[120:123], a[142:143], v[42:43], v[120:123]// 0000000056FC: D3F30078 0DE2558E
	s_waitcnt lgkmcnt(1)                                       // 000000005704: BF8CC17F
	v_mfma_f32_16x16x32_fp8_fp8 v[116:119], a[128:129], v[44:45], v[116:119]// 000000005708: D3F30074 0DD25980
	v_mfma_f32_16x16x32_fp8_fp8 v[120:123], a[144:145], v[44:45], v[120:123]// 000000005710: D3F30078 0DE25990
	v_mfma_f32_16x16x32_fp8_fp8 v[116:119], a[130:131], v[46:47], v[116:119]// 000000005718: D3F30074 0DD25D82
	v_mfma_f32_16x16x32_fp8_fp8 v[120:123], a[146:147], v[46:47], v[120:123]// 000000005720: D3F30078 0DE25D92
	s_waitcnt lgkmcnt(0)                                       // 000000005728: BF8CC07F
	v_mfma_f32_16x16x32_fp8_fp8 v[116:119], a[132:133], v[48:49], v[116:119]// 00000000572C: D3F30074 0DD26184
	v_mfma_f32_16x16x32_fp8_fp8 v[120:123], a[148:149], v[48:49], v[120:123]// 000000005734: D3F30078 0DE26194
	v_mfma_f32_16x16x32_fp8_fp8 v[116:119], a[134:135], v[50:51], v[116:119]// 00000000573C: D3F30074 0DD26586
	v_mfma_f32_16x16x32_fp8_fp8 v[120:123], a[150:151], v[50:51], v[120:123]// 000000005744: D3F30078 0DE26596
	s_addk_i32 s64, 0x100                                      // 00000000574C: B7400100
	s_cmp_lt_i32 s64, s63                                      // 000000005750: BF043F40
	s_cbranch_scc0 label_339E                                  // 000000005754: BF842748
	s_waitcnt vmcnt(10)                                        // 000000005758: BF8C0F7A
	v_mfma_f32_16x16x32_fp8_fp8 v[4:7], a[24:25], a[0:1], 0    // 00000000575C: D3F30004 1A020118
	s_add_u32 s12, s86, s69                                    // 000000005764: 800C4556
	s_addc_u32 s13, s87, 0                                     // 000000005768: 820D8057
	v_mfma_f32_16x16x32_fp8_fp8 v[4:7], a[26:27], a[2:3], v[4:7]// 00000000576C: D3F30004 1C12051A
	s_add_u32 s16, s88, s70                                    // 000000005774: 80104658
	s_addc_u32 s17, s89, 0                                     // 000000005778: 82118059
	v_mfma_f32_16x16x32_fp8_fp8 v[4:7], a[28:29], a[4:5], v[4:7]// 00000000577C: D3F30004 1C12091C
	buffer_load_dwordx4 a[56:59], v229, s[12:15], 0 offen      // 000000005784: E05C1000 808338E5
	v_mfma_f32_16x16x32_fp8_fp8 v[4:7], a[30:31], a[6:7], v[4:7]// 00000000578C: D3F30004 1C120D1E
	s_add_u32 s20, s90, s71                                    // 000000005794: 8014475A
	s_addc_u32 s21, s91, 0                                     // 000000005798: 8215805B
	v_mfma_f32_16x16x32_fp8_fp8 v[8:11], a[32:33], a[0:1], 0   // 00000000579C: D3F30008 1A020120
	s_add_u32 s24, s92, s71                                    // 0000000057A4: 8018475C
	s_addc_u32 s25, s93, 0                                     // 0000000057A8: 8219805D
	v_mfma_f32_16x16x32_fp8_fp8 v[8:11], a[34:35], a[2:3], v[8:11]// 0000000057AC: D3F30008 1C220522
	s_mul_i32 s69, s59, s50                                    // 0000000057B4: 9245323B
	s_mul_i32 s71, s59, s66                                    // 0000000057B8: 9247423B
	v_mfma_f32_16x16x32_fp8_fp8 v[8:11], a[36:37], a[4:5], v[8:11]// 0000000057BC: D3F30008 1C220924
	buffer_load_dwordx4 a[60:63], v230, s[12:15], 0 offen      // 0000000057C4: E05C1000 80833CE6
	v_mfma_f32_16x16x32_fp8_fp8 v[8:11], a[38:39], a[6:7], v[8:11]// 0000000057CC: D3F30008 1C220D26
	s_mul_i32 s54, s78, s51                                    // 0000000057D4: 9236334E
	s_add_u32 s69, s69, s54                                    // 0000000057D8: 80453645
	v_mfma_f32_16x16x32_fp8_fp8 v[12:15], a[40:41], a[0:1], 0  // 0000000057DC: D3F3000C 1A020128
	s_mov_b32 s70, s69                                         // 0000000057E4: BEC60045
	v_mfma_f32_16x16x32_fp8_fp8 v[12:15], a[42:43], a[2:3], v[12:15]// 0000000057E8: D3F3000C 1C32052A
	s_mul_i32 s54, s78, 4                                      // 0000000057F0: 9236844E
	s_add_u32 s71, s71, s54                                    // 0000000057F4: 80473647
	v_mfma_f32_16x16x32_fp8_fp8 v[12:15], a[44:45], a[4:5], v[12:15]// 0000000057F8: D3F3000C 1C32092C
	buffer_load_dwordx4 a[64:67], v229, s[12:15], 0 offen offset:1024// 000000005800: E05C1400 808340E5
	v_mfma_f32_16x16x32_fp8_fp8 v[12:15], a[46:47], a[6:7], v[12:15]// 000000005808: D3F3000C 1C320D2E
	v_mfma_f32_16x16x32_fp8_fp8 v[16:19], a[48:49], a[0:1], 0  // 000000005810: D3F30010 1A020130
	v_mfma_f32_16x16x32_fp8_fp8 v[16:19], a[50:51], a[2:3], v[16:19]// 000000005818: D3F30010 1C420532
	v_mfma_f32_16x16x32_fp8_fp8 v[16:19], a[52:53], a[4:5], v[16:19]// 000000005820: D3F30010 1C420934
	buffer_load_dwordx4 a[68:71], v230, s[12:15], 0 offen offset:1024// 000000005828: E05C1400 808344E6
	v_mfma_f32_16x16x32_fp8_fp8 v[16:19], a[54:55], a[6:7], v[16:19]// 000000005830: D3F30010 1C420D36
	v_mfma_f32_16x16x32_fp8_fp8 v[20:23], a[24:25], a[8:9], 0  // 000000005838: D3F30014 1A021118
	v_mfma_f32_16x16x32_fp8_fp8 v[20:23], a[26:27], a[10:11], v[20:23]// 000000005840: D3F30014 1C52151A
	v_mfma_f32_16x16x32_fp8_fp8 v[20:23], a[28:29], a[12:13], v[20:23]// 000000005848: D3F30014 1C52191C
	buffer_load_dwordx4 a[72:75], v229, s[12:15], 0 offen offset:2048// 000000005850: E05C1800 808348E5
	v_mfma_f32_16x16x32_fp8_fp8 v[20:23], a[30:31], a[14:15], v[20:23]// 000000005858: D3F30014 1C521D1E
	v_mfma_f32_16x16x32_fp8_fp8 v[24:27], a[32:33], a[8:9], 0  // 000000005860: D3F30018 1A021120
	v_mfma_f32_16x16x32_fp8_fp8 v[24:27], a[34:35], a[10:11], v[24:27]// 000000005868: D3F30018 1C621522
	v_mfma_f32_16x16x32_fp8_fp8 v[24:27], a[36:37], a[12:13], v[24:27]// 000000005870: D3F30018 1C621924
	buffer_load_dwordx4 a[76:79], v230, s[12:15], 0 offen offset:2048// 000000005878: E05C1800 80834CE6
	v_mfma_f32_16x16x32_fp8_fp8 v[24:27], a[38:39], a[14:15], v[24:27]// 000000005880: D3F30018 1C621D26
	v_mfma_f32_16x16x32_fp8_fp8 v[28:31], a[40:41], a[8:9], 0  // 000000005888: D3F3001C 1A021128
	v_mfma_f32_16x16x32_fp8_fp8 v[28:31], a[42:43], a[10:11], v[28:31]// 000000005890: D3F3001C 1C72152A
	v_mfma_f32_16x16x32_fp8_fp8 v[28:31], a[44:45], a[12:13], v[28:31]// 000000005898: D3F3001C 1C72192C
	buffer_load_dwordx4 a[80:83], v229, s[12:15], 0 offen offset:3072// 0000000058A0: E05C1C00 808350E5
	v_mfma_f32_16x16x32_fp8_fp8 v[28:31], a[46:47], a[14:15], v[28:31]// 0000000058A8: D3F3001C 1C721D2E
	v_mfma_f32_16x16x32_fp8_fp8 v[32:35], a[48:49], a[8:9], 0  // 0000000058B0: D3F30020 1A021130
	v_mfma_f32_16x16x32_fp8_fp8 v[32:35], a[50:51], a[10:11], v[32:35]// 0000000058B8: D3F30020 1C821532
	v_mfma_f32_16x16x32_fp8_fp8 v[32:35], a[52:53], a[12:13], v[32:35]// 0000000058C0: D3F30020 1C821934
	buffer_load_dwordx4 a[84:87], v230, s[12:15], 0 offen offset:3072// 0000000058C8: E05C1C00 808354E6
	v_mfma_f32_16x16x32_fp8_fp8 v[32:35], a[54:55], a[14:15], v[32:35]// 0000000058D0: D3F30020 1C821D36
	v_mfma_f32_16x16x32_fp8_fp8 v[36:39], a[24:25], a[16:17], 0// 0000000058D8: D3F30024 1A022118
	v_mfma_f32_16x16x32_fp8_fp8 v[36:39], a[26:27], a[18:19], v[36:39]// 0000000058E0: D3F30024 1C92251A
	v_mfma_f32_16x16x32_fp8_fp8 v[36:39], a[28:29], a[20:21], v[36:39]// 0000000058E8: D3F30024 1C92291C
	v_mfma_f32_16x16x32_fp8_fp8 v[36:39], a[30:31], a[22:23], v[36:39]// 0000000058F0: D3F30024 1C922D1E
	v_mfma_f32_16x16x32_fp8_fp8 v[40:43], a[32:33], a[16:17], 0// 0000000058F8: D3F30028 1A022120
	v_mfma_f32_16x16x32_fp8_fp8 v[40:43], a[34:35], a[18:19], v[40:43]// 000000005900: D3F30028 1CA22522
	v_mfma_f32_16x16x32_fp8_fp8 v[40:43], a[36:37], a[20:21], v[40:43]// 000000005908: D3F30028 1CA22924
	v_mfma_f32_16x16x32_fp8_fp8 v[40:43], a[38:39], a[22:23], v[40:43]// 000000005910: D3F30028 1CA22D26
	v_mfma_f32_16x16x32_fp8_fp8 v[44:47], a[40:41], a[16:17], 0// 000000005918: D3F3002C 1A022128
	v_mfma_f32_16x16x32_fp8_fp8 v[44:47], a[42:43], a[18:19], v[44:47]// 000000005920: D3F3002C 1CB2252A
	v_mfma_f32_16x16x32_fp8_fp8 v[44:47], a[44:45], a[20:21], v[44:47]// 000000005928: D3F3002C 1CB2292C
	v_mfma_f32_16x16x32_fp8_fp8 v[44:47], a[46:47], a[22:23], v[44:47]// 000000005930: D3F3002C 1CB22D2E
	v_mfma_f32_16x16x32_fp8_fp8 v[48:51], a[48:49], a[16:17], 0// 000000005938: D3F30030 1A022130
	v_mfma_f32_16x16x32_fp8_fp8 v[48:51], a[50:51], a[18:19], v[48:51]// 000000005940: D3F30030 1CC22532
	v_mfma_f32_16x16x32_fp8_fp8 v[48:51], a[52:53], a[20:21], v[48:51]// 000000005948: D3F30030 1CC22934
	v_mfma_f32_16x16x32_fp8_fp8 v[48:51], a[54:55], a[22:23], v[48:51]// 000000005950: D3F30030 1CC22D36
	s_waitcnt vmcnt(16)                                        // 000000005958: BF8C4F70
	v_pk_mul_f32 v[4:5], v[148:149], v[4:5]                    // 00000000595C: D3B14004 18020994
	v_pk_mul_f32 v[6:7], v[148:149], v[6:7]                    // 000000005964: D3B14006 18020D94
	v_mul_f32_dpp v4, v154, v4 row_newbcast:0 row_mask:0xf bank_mask:0xf// 00000000596C: 0A0808FA FF01509A
	v_mul_f32_dpp v5, v154, v5 row_newbcast:1 row_mask:0xf bank_mask:0xf// 000000005974: 0A0A0AFA FF01519A
	v_mul_f32_dpp v6, v154, v6 row_newbcast:2 row_mask:0xf bank_mask:0xf// 00000000597C: 0A0C0CFA FF01529A
	v_mul_f32_dpp v7, v154, v7 row_newbcast:3 row_mask:0xf bank_mask:0xf// 000000005984: 0A0E0EFA FF01539A
	v_pk_mul_f32 v[8:9], v[148:149], v[8:9]                    // 00000000598C: D3B14008 18021194
	v_pk_mul_f32 v[10:11], v[148:149], v[10:11]                // 000000005994: D3B1400A 18021594
	v_mul_f32_dpp v8, v154, v8 row_newbcast:4 row_mask:0xf bank_mask:0xf// 00000000599C: 0A1010FA FF01549A
	v_mul_f32_dpp v9, v154, v9 row_newbcast:5 row_mask:0xf bank_mask:0xf// 0000000059A4: 0A1212FA FF01559A
	v_mul_f32_dpp v10, v154, v10 row_newbcast:6 row_mask:0xf bank_mask:0xf// 0000000059AC: 0A1414FA FF01569A
	v_mul_f32_dpp v11, v154, v11 row_newbcast:7 row_mask:0xf bank_mask:0xf// 0000000059B4: 0A1616FA FF01579A
	v_pk_mul_f32 v[12:13], v[148:149], v[12:13]                // 0000000059BC: D3B1400C 18021994
	v_pk_mul_f32 v[14:15], v[148:149], v[14:15]                // 0000000059C4: D3B1400E 18021D94
	v_mul_f32_dpp v12, v154, v12 row_newbcast:8 row_mask:0xf bank_mask:0xf// 0000000059CC: 0A1818FA FF01589A
	v_mul_f32_dpp v13, v154, v13 row_newbcast:9 row_mask:0xf bank_mask:0xf// 0000000059D4: 0A1A1AFA FF01599A
	v_mul_f32_dpp v14, v154, v14 row_newbcast:10 row_mask:0xf bank_mask:0xf// 0000000059DC: 0A1C1CFA FF015A9A
	v_mul_f32_dpp v15, v154, v15 row_newbcast:11 row_mask:0xf bank_mask:0xf// 0000000059E4: 0A1E1EFA FF015B9A
	v_pk_mul_f32 v[16:17], v[148:149], v[16:17]                // 0000000059EC: D3B14010 18022194
	v_pk_mul_f32 v[18:19], v[148:149], v[18:19]                // 0000000059F4: D3B14012 18022594
	v_mul_f32_dpp v16, v154, v16 row_newbcast:12 row_mask:0xf bank_mask:0xf// 0000000059FC: 0A2020FA FF015C9A
	v_mul_f32_dpp v17, v154, v17 row_newbcast:13 row_mask:0xf bank_mask:0xf// 000000005A04: 0A2222FA FF015D9A
	v_mul_f32_dpp v18, v154, v18 row_newbcast:14 row_mask:0xf bank_mask:0xf// 000000005A0C: 0A2424FA FF015E9A
	v_mul_f32_dpp v19, v154, v19 row_newbcast:15 row_mask:0xf bank_mask:0xf// 000000005A14: 0A2626FA FF015F9A
	v_pk_mul_f32 v[20:21], v[150:151], v[20:21]                // 000000005A1C: D3B14014 18022996
	v_pk_mul_f32 v[22:23], v[150:151], v[22:23]                // 000000005A24: D3B14016 18022D96
	v_mul_f32_dpp v20, v154, v20 row_newbcast:0 row_mask:0xf bank_mask:0xf// 000000005A2C: 0A2828FA FF01509A
	v_mul_f32_dpp v21, v154, v21 row_newbcast:1 row_mask:0xf bank_mask:0xf// 000000005A34: 0A2A2AFA FF01519A
	v_mul_f32_dpp v22, v154, v22 row_newbcast:2 row_mask:0xf bank_mask:0xf// 000000005A3C: 0A2C2CFA FF01529A
	v_mul_f32_dpp v23, v154, v23 row_newbcast:3 row_mask:0xf bank_mask:0xf// 000000005A44: 0A2E2EFA FF01539A
	v_pk_mul_f32 v[24:25], v[150:151], v[24:25]                // 000000005A4C: D3B14018 18023196
	v_pk_mul_f32 v[26:27], v[150:151], v[26:27]                // 000000005A54: D3B1401A 18023596
	v_mul_f32_dpp v24, v154, v24 row_newbcast:4 row_mask:0xf bank_mask:0xf// 000000005A5C: 0A3030FA FF01549A
	v_mul_f32_dpp v25, v154, v25 row_newbcast:5 row_mask:0xf bank_mask:0xf// 000000005A64: 0A3232FA FF01559A
	v_mul_f32_dpp v26, v154, v26 row_newbcast:6 row_mask:0xf bank_mask:0xf// 000000005A6C: 0A3434FA FF01569A
	v_mul_f32_dpp v27, v154, v27 row_newbcast:7 row_mask:0xf bank_mask:0xf// 000000005A74: 0A3636FA FF01579A
	v_pk_mul_f32 v[28:29], v[150:151], v[28:29]                // 000000005A7C: D3B1401C 18023996
	v_pk_mul_f32 v[30:31], v[150:151], v[30:31]                // 000000005A84: D3B1401E 18023D96
	v_mul_f32_dpp v28, v154, v28 row_newbcast:8 row_mask:0xf bank_mask:0xf// 000000005A8C: 0A3838FA FF01589A
	v_mul_f32_dpp v29, v154, v29 row_newbcast:9 row_mask:0xf bank_mask:0xf// 000000005A94: 0A3A3AFA FF01599A
	v_mul_f32_dpp v30, v154, v30 row_newbcast:10 row_mask:0xf bank_mask:0xf// 000000005A9C: 0A3C3CFA FF015A9A
	v_mul_f32_dpp v31, v154, v31 row_newbcast:11 row_mask:0xf bank_mask:0xf// 000000005AA4: 0A3E3EFA FF015B9A
	v_pk_mul_f32 v[32:33], v[150:151], v[32:33]                // 000000005AAC: D3B14020 18024196
	v_pk_mul_f32 v[34:35], v[150:151], v[34:35]                // 000000005AB4: D3B14022 18024596
	v_mul_f32_dpp v32, v154, v32 row_newbcast:12 row_mask:0xf bank_mask:0xf// 000000005ABC: 0A4040FA FF015C9A
	v_mul_f32_dpp v33, v154, v33 row_newbcast:13 row_mask:0xf bank_mask:0xf// 000000005AC4: 0A4242FA FF015D9A
	v_mul_f32_dpp v34, v154, v34 row_newbcast:14 row_mask:0xf bank_mask:0xf// 000000005ACC: 0A4444FA FF015E9A
	v_mul_f32_dpp v35, v154, v35 row_newbcast:15 row_mask:0xf bank_mask:0xf// 000000005AD4: 0A4646FA FF015F9A
	v_pk_mul_f32 v[36:37], v[152:153], v[36:37]                // 000000005ADC: D3B14024 18024998
	v_pk_mul_f32 v[38:39], v[152:153], v[38:39]                // 000000005AE4: D3B14026 18024D98
	v_mul_f32_dpp v36, v154, v36 row_newbcast:0 row_mask:0xf bank_mask:0xf// 000000005AEC: 0A4848FA FF01509A
	v_mul_f32_dpp v37, v154, v37 row_newbcast:1 row_mask:0xf bank_mask:0xf// 000000005AF4: 0A4A4AFA FF01519A
	v_mul_f32_dpp v38, v154, v38 row_newbcast:2 row_mask:0xf bank_mask:0xf// 000000005AFC: 0A4C4CFA FF01529A
	v_mul_f32_dpp v39, v154, v39 row_newbcast:3 row_mask:0xf bank_mask:0xf// 000000005B04: 0A4E4EFA FF01539A
	v_pk_mul_f32 v[40:41], v[152:153], v[40:41]                // 000000005B0C: D3B14028 18025198
	v_pk_mul_f32 v[42:43], v[152:153], v[42:43]                // 000000005B14: D3B1402A 18025598
	v_mul_f32_dpp v40, v154, v40 row_newbcast:4 row_mask:0xf bank_mask:0xf// 000000005B1C: 0A5050FA FF01549A
	v_mul_f32_dpp v41, v154, v41 row_newbcast:5 row_mask:0xf bank_mask:0xf// 000000005B24: 0A5252FA FF01559A
	v_mul_f32_dpp v42, v154, v42 row_newbcast:6 row_mask:0xf bank_mask:0xf// 000000005B2C: 0A5454FA FF01569A
	v_mul_f32_dpp v43, v154, v43 row_newbcast:7 row_mask:0xf bank_mask:0xf// 000000005B34: 0A5656FA FF01579A
	v_pk_mul_f32 v[44:45], v[152:153], v[44:45]                // 000000005B3C: D3B1402C 18025998
	v_pk_mul_f32 v[46:47], v[152:153], v[46:47]                // 000000005B44: D3B1402E 18025D98
	v_mul_f32_dpp v44, v154, v44 row_newbcast:8 row_mask:0xf bank_mask:0xf// 000000005B4C: 0A5858FA FF01589A
	v_mul_f32_dpp v45, v154, v45 row_newbcast:9 row_mask:0xf bank_mask:0xf// 000000005B54: 0A5A5AFA FF01599A
	v_mul_f32_dpp v46, v154, v46 row_newbcast:10 row_mask:0xf bank_mask:0xf// 000000005B5C: 0A5C5CFA FF015A9A
	v_mul_f32_dpp v47, v154, v47 row_newbcast:11 row_mask:0xf bank_mask:0xf// 000000005B64: 0A5E5EFA FF015B9A
	v_pk_mul_f32 v[48:49], v[152:153], v[48:49]                // 000000005B6C: D3B14030 18026198
	v_pk_mul_f32 v[50:51], v[152:153], v[50:51]                // 000000005B74: D3B14032 18026598
	v_mul_f32_dpp v48, v154, v48 row_newbcast:12 row_mask:0xf bank_mask:0xf// 000000005B7C: 0A6060FA FF015C9A
	v_mul_f32_dpp v49, v154, v49 row_newbcast:13 row_mask:0xf bank_mask:0xf// 000000005B84: 0A6262FA FF015D9A
	v_mul_f32_dpp v50, v154, v50 row_newbcast:14 row_mask:0xf bank_mask:0xf// 000000005B8C: 0A6464FA FF015E9A
	v_mul_f32_dpp v51, v154, v51 row_newbcast:15 row_mask:0xf bank_mask:0xf// 000000005B94: 0A6666FA FF015F9A
	v_mov_b32_e32 v182, v4                                     // 000000005B9C: 7F6C0304
	v_max3_f32 v182, v4, v5, v182                              // 000000005BA0: D1D300B6 06DA0B04
	v_max3_f32 v182, v6, v7, v182                              // 000000005BA8: D1D300B6 06DA0F06
	v_max3_f32 v182, v8, v9, v182                              // 000000005BB0: D1D300B6 06DA1308
	v_max3_f32 v182, v10, v11, v182                            // 000000005BB8: D1D300B6 06DA170A
	v_max3_f32 v182, v12, v13, v182                            // 000000005BC0: D1D300B6 06DA1B0C
	v_max3_f32 v182, v14, v15, v182                            // 000000005BC8: D1D300B6 06DA1F0E
	v_max3_f32 v182, v16, v17, v182                            // 000000005BD0: D1D300B6 06DA2310
	v_max3_f32 v182, v18, v19, v182                            // 000000005BD8: D1D300B6 06DA2712
	v_mov_b32_e32 v183, v20                                    // 000000005BE0: 7F6E0314
	v_max3_f32 v183, v20, v21, v183                            // 000000005BE4: D1D300B7 06DE2B14
	v_max3_f32 v183, v22, v23, v183                            // 000000005BEC: D1D300B7 06DE2F16
	v_max3_f32 v183, v24, v25, v183                            // 000000005BF4: D1D300B7 06DE3318
	v_max3_f32 v183, v26, v27, v183                            // 000000005BFC: D1D300B7 06DE371A
	v_max3_f32 v183, v28, v29, v183                            // 000000005C04: D1D300B7 06DE3B1C
	v_max3_f32 v183, v30, v31, v183                            // 000000005C0C: D1D300B7 06DE3F1E
	v_max3_f32 v183, v32, v33, v183                            // 000000005C14: D1D300B7 06DE4320
	v_max3_f32 v183, v34, v35, v183                            // 000000005C1C: D1D300B7 06DE4722
	v_mov_b32_e32 v184, v36                                    // 000000005C24: 7F700324
	v_max3_f32 v184, v36, v37, v184                            // 000000005C28: D1D300B8 06E24B24
	v_max3_f32 v184, v38, v39, v184                            // 000000005C30: D1D300B8 06E24F26
	v_max3_f32 v184, v40, v41, v184                            // 000000005C38: D1D300B8 06E25328
	v_max3_f32 v184, v42, v43, v184                            // 000000005C40: D1D300B8 06E2572A
	v_max3_f32 v184, v44, v45, v184                            // 000000005C48: D1D300B8 06E25B2C
	v_max3_f32 v184, v46, v47, v184                            // 000000005C50: D1D300B8 06E25F2E
	v_max3_f32 v184, v48, v49, v184                            // 000000005C58: D1D300B8 06E26330
	v_max3_f32 v184, v50, v51, v184                            // 000000005C60: D1D300B8 06E26732
	ds_bpermute_b32 v188, v208, v182                           // 000000005C68: D87E0000 BC00B6D0
	ds_bpermute_b32 v189, v209, v182                           // 000000005C70: D87E0000 BD00B6D1
	ds_bpermute_b32 v190, v210, v182                           // 000000005C78: D87E0000 BE00B6D2
	ds_bpermute_b32 v191, v208, v183                           // 000000005C80: D87E0000 BF00B7D0
	ds_bpermute_b32 v192, v209, v183                           // 000000005C88: D87E0000 C000B7D1
	ds_bpermute_b32 v193, v210, v183                           // 000000005C90: D87E0000 C100B7D2
	ds_bpermute_b32 v194, v208, v184                           // 000000005C98: D87E0000 C200B8D0
	ds_bpermute_b32 v195, v209, v184                           // 000000005CA0: D87E0000 C300B8D1
	ds_bpermute_b32 v196, v210, v184                           // 000000005CA8: D87E0000 C400B8D2
	v_pk_mul_f32 v[124:125], v[170:171], v[124:125]            // 000000005CB0: D3B1407C 1802F9AA
	v_pk_mul_f32 v[126:127], v[170:171], v[126:127]            // 000000005CB8: D3B1407E 1802FDAA
	v_pk_mul_f32 v[128:129], v[170:171], v[128:129]            // 000000005CC0: D3B14080 180301AA
	v_pk_mul_f32 v[130:131], v[170:171], v[130:131]            // 000000005CC8: D3B14082 180305AA
	v_pk_mul_f32 v[132:133], v[172:173], v[132:133]            // 000000005CD0: D3B14084 180309AC
	v_pk_mul_f32 v[134:135], v[172:173], v[134:135]            // 000000005CD8: D3B14086 18030DAC
	v_pk_mul_f32 v[136:137], v[172:173], v[136:137]            // 000000005CE0: D3B14088 180311AC
	v_pk_mul_f32 v[138:139], v[172:173], v[138:139]            // 000000005CE8: D3B1408A 180315AC
	v_pk_mul_f32 v[140:141], v[174:175], v[140:141]            // 000000005CF0: D3B1408C 180319AE
	v_pk_mul_f32 v[142:143], v[174:175], v[142:143]            // 000000005CF8: D3B1408E 18031DAE
	v_pk_mul_f32 v[144:145], v[174:175], v[144:145]            // 000000005D00: D3B14090 180321AE
	v_pk_mul_f32 v[146:147], v[174:175], v[146:147]            // 000000005D08: D3B14092 180325AE
	s_waitcnt lgkmcnt(6)                                       // 000000005D10: BF8CC67F
	v_max3_f32 v182, v188, v189, v182                          // 000000005D14: D1D300B6 06DB7BBC
	v_max_f32_e32 v182, v190, v182                             // 000000005D1C: 176D6DBE
	s_waitcnt lgkmcnt(3)                                       // 000000005D20: BF8CC37F
	v_max3_f32 v183, v191, v192, v183                          // 000000005D24: D1D300B7 06DF81BF
	v_max_f32_e32 v183, v193, v183                             // 000000005D2C: 176F6FC1
	s_waitcnt lgkmcnt(0)                                       // 000000005D30: BF8CC07F
	v_max3_f32 v184, v194, v195, v184                          // 000000005D34: D1D300B8 06E387C2
	v_max_f32_e32 v184, v196, v184                             // 000000005D3C: 177171C4
	ds_write_b128 v249, v[182:185]                             // 000000005D40: D9BE0000 0000B6F9
	s_waitcnt lgkmcnt(0)                                       // 000000005D48: BF8CC07F
	s_barrier                                                  // 000000005D4C: BF8A0000
	ds_read_b128 v[188:191], v250                              // 000000005D50: D9FE0000 BC0000FA
	ds_read_b128 v[192:195], v250 offset:256                   // 000000005D58: D9FE0100 C00000FA
	ds_read_b128 v[196:199], v250 offset:512                   // 000000005D60: D9FE0200 C40000FA
	ds_read_b128 v[200:203], v250 offset:768                   // 000000005D68: D9FE0300 C80000FA
	v_pk_mul_f32 v[100:101], v[158:159], v[100:101]            // 000000005D70: D3B14064 1802C99E
	v_pk_mul_f32 v[102:103], v[158:159], v[102:103]            // 000000005D78: D3B14066 1802CD9E
	v_pk_mul_f32 v[104:105], v[158:159], v[104:105]            // 000000005D80: D3B14068 1802D19E
	v_pk_mul_f32 v[106:107], v[158:159], v[106:107]            // 000000005D88: D3B1406A 1802D59E
	v_pk_mul_f32 v[108:109], v[160:161], v[108:109]            // 000000005D90: D3B1406C 1802D9A0
	v_pk_mul_f32 v[110:111], v[160:161], v[110:111]            // 000000005D98: D3B1406E 1802DDA0
	v_pk_mul_f32 v[112:113], v[160:161], v[112:113]            // 000000005DA0: D3B14070 1802E1A0
	v_pk_mul_f32 v[114:115], v[160:161], v[114:115]            // 000000005DA8: D3B14072 1802E5A0
	v_pk_mul_f32 v[116:117], v[162:163], v[116:117]            // 000000005DB0: D3B14074 1802E9A2
	v_pk_mul_f32 v[118:119], v[162:163], v[118:119]            // 000000005DB8: D3B14076 1802EDA2
	v_pk_mul_f32 v[120:121], v[162:163], v[120:121]            // 000000005DC0: D3B14078 1802F1A2
	v_pk_mul_f32 v[122:123], v[162:163], v[122:123]            // 000000005DC8: D3B1407A 1802F5A2
	s_waitcnt lgkmcnt(0)                                       // 000000005DD0: BF8CC07F
	v_max3_f32 v182, v188, v192, v182                          // 000000005DD4: D1D300B6 06DB81BC
	v_max3_f32 v183, v189, v193, v183                          // 000000005DDC: D1D300B7 06DF83BD
	v_max3_f32 v184, v190, v194, v184                          // 000000005DE4: D1D300B8 06E385BE
	v_max3_f32 v182, v196, v200, v182                          // 000000005DEC: D1D300B6 06DB91C4
	v_max3_f32 v183, v197, v201, v183                          // 000000005DF4: D1D300B7 06DF93C5
	v_max3_f32 v184, v198, v202, v184                          // 000000005DFC: D1D300B8 06E395C6
	v_max_f32_e32 v167, v182, v164                             // 000000005E04: 174F49B6
	v_mul_f32_e64 v204, -s46, v167                             // 000000005E08: D10500CC 20034E2E
	v_mov_b32_e32 v205, v204                                   // 000000005E10: 7F9A03CC
	v_pk_fma_f32 v[4:5], v[4:5], s[46:47], v[204:205]          // 000000005E14: D3B04004 1F305D04
	v_pk_fma_f32 v[6:7], v[6:7], s[46:47], v[204:205]          // 000000005E1C: D3B04006 1F305D06
	v_exp_f32_e32 v4, v4                                       // 000000005E24: 7E084104
	v_exp_f32_e32 v5, v5                                       // 000000005E28: 7E0A4105
	v_exp_f32_e32 v6, v6                                       // 000000005E2C: 7E0C4106
	v_exp_f32_e32 v7, v7                                       // 000000005E30: 7E0E4107
	v_pk_fma_f32 v[8:9], v[8:9], s[46:47], v[204:205]          // 000000005E34: D3B04008 1F305D08
	v_pk_fma_f32 v[10:11], v[10:11], s[46:47], v[204:205]      // 000000005E3C: D3B0400A 1F305D0A
	v_exp_f32_e32 v8, v8                                       // 000000005E44: 7E104108
	v_exp_f32_e32 v9, v9                                       // 000000005E48: 7E124109
	v_exp_f32_e32 v10, v10                                     // 000000005E4C: 7E14410A
	v_exp_f32_e32 v11, v11                                     // 000000005E50: 7E16410B
	v_pk_fma_f32 v[12:13], v[12:13], s[46:47], v[204:205]      // 000000005E54: D3B0400C 1F305D0C
	v_pk_fma_f32 v[14:15], v[14:15], s[46:47], v[204:205]      // 000000005E5C: D3B0400E 1F305D0E
	v_exp_f32_e32 v12, v12                                     // 000000005E64: 7E18410C
	v_exp_f32_e32 v13, v13                                     // 000000005E68: 7E1A410D
	v_exp_f32_e32 v14, v14                                     // 000000005E6C: 7E1C410E
	v_exp_f32_e32 v15, v15                                     // 000000005E70: 7E1E410F
	v_pk_fma_f32 v[16:17], v[16:17], s[46:47], v[204:205]      // 000000005E74: D3B04010 1F305D10
	v_pk_fma_f32 v[18:19], v[18:19], s[46:47], v[204:205]      // 000000005E7C: D3B04012 1F305D12
	v_exp_f32_e32 v16, v16                                     // 000000005E84: 7E204110
	v_exp_f32_e32 v17, v17                                     // 000000005E88: 7E224111
	v_exp_f32_e32 v18, v18                                     // 000000005E8C: 7E244112
	v_exp_f32_e32 v19, v19                                     // 000000005E90: 7E264113
	v_max_f32_e32 v168, v183, v165                             // 000000005E94: 17514BB7
	v_mul_f32_e64 v204, -s46, v168                             // 000000005E98: D10500CC 2003502E
	v_mov_b32_e32 v205, v204                                   // 000000005EA0: 7F9A03CC
	v_pk_fma_f32 v[20:21], v[20:21], s[46:47], v[204:205]      // 000000005EA4: D3B04014 1F305D14
	v_pk_fma_f32 v[22:23], v[22:23], s[46:47], v[204:205]      // 000000005EAC: D3B04016 1F305D16
	v_exp_f32_e32 v20, v20                                     // 000000005EB4: 7E284114
	v_exp_f32_e32 v21, v21                                     // 000000005EB8: 7E2A4115
	v_exp_f32_e32 v22, v22                                     // 000000005EBC: 7E2C4116
	v_exp_f32_e32 v23, v23                                     // 000000005EC0: 7E2E4117
	v_pk_fma_f32 v[24:25], v[24:25], s[46:47], v[204:205]      // 000000005EC4: D3B04018 1F305D18
	v_pk_fma_f32 v[26:27], v[26:27], s[46:47], v[204:205]      // 000000005ECC: D3B0401A 1F305D1A
	v_exp_f32_e32 v24, v24                                     // 000000005ED4: 7E304118
	v_exp_f32_e32 v25, v25                                     // 000000005ED8: 7E324119
	v_exp_f32_e32 v26, v26                                     // 000000005EDC: 7E34411A
	v_exp_f32_e32 v27, v27                                     // 000000005EE0: 7E36411B
	v_pk_fma_f32 v[28:29], v[28:29], s[46:47], v[204:205]      // 000000005EE4: D3B0401C 1F305D1C
	v_pk_fma_f32 v[30:31], v[30:31], s[46:47], v[204:205]      // 000000005EEC: D3B0401E 1F305D1E
	v_exp_f32_e32 v28, v28                                     // 000000005EF4: 7E38411C
	v_exp_f32_e32 v29, v29                                     // 000000005EF8: 7E3A411D
	v_exp_f32_e32 v30, v30                                     // 000000005EFC: 7E3C411E
	v_exp_f32_e32 v31, v31                                     // 000000005F00: 7E3E411F
	v_pk_fma_f32 v[32:33], v[32:33], s[46:47], v[204:205]      // 000000005F04: D3B04020 1F305D20
	v_pk_fma_f32 v[34:35], v[34:35], s[46:47], v[204:205]      // 000000005F0C: D3B04022 1F305D22
	v_exp_f32_e32 v32, v32                                     // 000000005F14: 7E404120
	v_exp_f32_e32 v33, v33                                     // 000000005F18: 7E424121
	v_exp_f32_e32 v34, v34                                     // 000000005F1C: 7E444122
	v_exp_f32_e32 v35, v35                                     // 000000005F20: 7E464123
	v_max_f32_e32 v169, v184, v166                             // 000000005F24: 17534DB8
	v_mul_f32_e64 v204, -s46, v169                             // 000000005F28: D10500CC 2003522E
	v_mov_b32_e32 v205, v204                                   // 000000005F30: 7F9A03CC
	v_pk_fma_f32 v[36:37], v[36:37], s[46:47], v[204:205]      // 000000005F34: D3B04024 1F305D24
	v_pk_fma_f32 v[38:39], v[38:39], s[46:47], v[204:205]      // 000000005F3C: D3B04026 1F305D26
	v_exp_f32_e32 v36, v36                                     // 000000005F44: 7E484124
	v_exp_f32_e32 v37, v37                                     // 000000005F48: 7E4A4125
	v_exp_f32_e32 v38, v38                                     // 000000005F4C: 7E4C4126
	v_exp_f32_e32 v39, v39                                     // 000000005F50: 7E4E4127
	v_pk_fma_f32 v[40:41], v[40:41], s[46:47], v[204:205]      // 000000005F54: D3B04028 1F305D28
	v_pk_fma_f32 v[42:43], v[42:43], s[46:47], v[204:205]      // 000000005F5C: D3B0402A 1F305D2A
	v_exp_f32_e32 v40, v40                                     // 000000005F64: 7E504128
	v_exp_f32_e32 v41, v41                                     // 000000005F68: 7E524129
	v_exp_f32_e32 v42, v42                                     // 000000005F6C: 7E54412A
	v_exp_f32_e32 v43, v43                                     // 000000005F70: 7E56412B
	v_pk_fma_f32 v[44:45], v[44:45], s[46:47], v[204:205]      // 000000005F74: D3B0402C 1F305D2C
	v_pk_fma_f32 v[46:47], v[46:47], s[46:47], v[204:205]      // 000000005F7C: D3B0402E 1F305D2E
	v_exp_f32_e32 v44, v44                                     // 000000005F84: 7E58412C
	v_exp_f32_e32 v45, v45                                     // 000000005F88: 7E5A412D
	v_exp_f32_e32 v46, v46                                     // 000000005F8C: 7E5C412E
	v_exp_f32_e32 v47, v47                                     // 000000005F90: 7E5E412F
	v_pk_fma_f32 v[48:49], v[48:49], s[46:47], v[204:205]      // 000000005F94: D3B04030 1F305D30
	v_pk_fma_f32 v[50:51], v[50:51], s[46:47], v[204:205]      // 000000005F9C: D3B04032 1F305D32
	v_exp_f32_e32 v48, v48                                     // 000000005FA4: 7E604130
	v_exp_f32_e32 v49, v49                                     // 000000005FA8: 7E624131
	v_exp_f32_e32 v50, v50                                     // 000000005FAC: 7E644132
	v_exp_f32_e32 v51, v51                                     // 000000005FB0: 7E664133
	v_mul_f32_dpp v52, v156, v4 row_newbcast:0 row_mask:0xf bank_mask:0xf// 000000005FB4: 0A6808FA FF01509C
	v_mul_f32_dpp v53, v156, v5 row_newbcast:1 row_mask:0xf bank_mask:0xf// 000000005FBC: 0A6A0AFA FF01519C
	v_mul_f32_dpp v54, v156, v6 row_newbcast:2 row_mask:0xf bank_mask:0xf// 000000005FC4: 0A6C0CFA FF01529C
	v_mul_f32_dpp v55, v156, v7 row_newbcast:3 row_mask:0xf bank_mask:0xf// 000000005FCC: 0A6E0EFA FF01539C
	v_mul_f32_dpp v56, v156, v8 row_newbcast:4 row_mask:0xf bank_mask:0xf// 000000005FD4: 0A7010FA FF01549C
	v_mul_f32_dpp v57, v156, v9 row_newbcast:5 row_mask:0xf bank_mask:0xf// 000000005FDC: 0A7212FA FF01559C
	v_mul_f32_dpp v58, v156, v10 row_newbcast:6 row_mask:0xf bank_mask:0xf// 000000005FE4: 0A7414FA FF01569C
	v_mul_f32_dpp v59, v156, v11 row_newbcast:7 row_mask:0xf bank_mask:0xf// 000000005FEC: 0A7616FA FF01579C
	v_mul_f32_dpp v60, v156, v12 row_newbcast:8 row_mask:0xf bank_mask:0xf// 000000005FF4: 0A7818FA FF01589C
	v_mul_f32_dpp v61, v156, v13 row_newbcast:9 row_mask:0xf bank_mask:0xf// 000000005FFC: 0A7A1AFA FF01599C
	v_mul_f32_dpp v62, v156, v14 row_newbcast:10 row_mask:0xf bank_mask:0xf// 000000006004: 0A7C1CFA FF015A9C
	v_mul_f32_dpp v63, v156, v15 row_newbcast:11 row_mask:0xf bank_mask:0xf// 00000000600C: 0A7E1EFA FF015B9C
	v_mul_f32_dpp v64, v156, v16 row_newbcast:12 row_mask:0xf bank_mask:0xf// 000000006014: 0A8020FA FF015C9C
	v_mul_f32_dpp v65, v156, v17 row_newbcast:13 row_mask:0xf bank_mask:0xf// 00000000601C: 0A8222FA FF015D9C
	v_mul_f32_dpp v66, v156, v18 row_newbcast:14 row_mask:0xf bank_mask:0xf// 000000006024: 0A8424FA FF015E9C
	v_mul_f32_dpp v67, v156, v19 row_newbcast:15 row_mask:0xf bank_mask:0xf// 00000000602C: 0A8626FA FF015F9C
	v_mul_f32_dpp v68, v156, v20 row_newbcast:0 row_mask:0xf bank_mask:0xf// 000000006034: 0A8828FA FF01509C
	v_mul_f32_dpp v69, v156, v21 row_newbcast:1 row_mask:0xf bank_mask:0xf// 00000000603C: 0A8A2AFA FF01519C
	v_mul_f32_dpp v70, v156, v22 row_newbcast:2 row_mask:0xf bank_mask:0xf// 000000006044: 0A8C2CFA FF01529C
	v_mul_f32_dpp v71, v156, v23 row_newbcast:3 row_mask:0xf bank_mask:0xf// 00000000604C: 0A8E2EFA FF01539C
	v_mul_f32_dpp v72, v156, v24 row_newbcast:4 row_mask:0xf bank_mask:0xf// 000000006054: 0A9030FA FF01549C
	v_mul_f32_dpp v73, v156, v25 row_newbcast:5 row_mask:0xf bank_mask:0xf// 00000000605C: 0A9232FA FF01559C
	v_mul_f32_dpp v74, v156, v26 row_newbcast:6 row_mask:0xf bank_mask:0xf// 000000006064: 0A9434FA FF01569C
	v_mul_f32_dpp v75, v156, v27 row_newbcast:7 row_mask:0xf bank_mask:0xf// 00000000606C: 0A9636FA FF01579C
	v_mul_f32_dpp v76, v156, v28 row_newbcast:8 row_mask:0xf bank_mask:0xf// 000000006074: 0A9838FA FF01589C
	v_mul_f32_dpp v77, v156, v29 row_newbcast:9 row_mask:0xf bank_mask:0xf// 00000000607C: 0A9A3AFA FF01599C
	v_mul_f32_dpp v78, v156, v30 row_newbcast:10 row_mask:0xf bank_mask:0xf// 000000006084: 0A9C3CFA FF015A9C
	v_mul_f32_dpp v79, v156, v31 row_newbcast:11 row_mask:0xf bank_mask:0xf// 00000000608C: 0A9E3EFA FF015B9C
	v_mul_f32_dpp v80, v156, v32 row_newbcast:12 row_mask:0xf bank_mask:0xf// 000000006094: 0AA040FA FF015C9C
	v_mul_f32_dpp v81, v156, v33 row_newbcast:13 row_mask:0xf bank_mask:0xf// 00000000609C: 0AA242FA FF015D9C
	v_mul_f32_dpp v82, v156, v34 row_newbcast:14 row_mask:0xf bank_mask:0xf// 0000000060A4: 0AA444FA FF015E9C
	v_mul_f32_dpp v83, v156, v35 row_newbcast:15 row_mask:0xf bank_mask:0xf// 0000000060AC: 0AA646FA FF015F9C
	v_mul_f32_dpp v84, v156, v36 row_newbcast:0 row_mask:0xf bank_mask:0xf// 0000000060B4: 0AA848FA FF01509C
	v_mul_f32_dpp v85, v156, v37 row_newbcast:1 row_mask:0xf bank_mask:0xf// 0000000060BC: 0AAA4AFA FF01519C
	v_mul_f32_dpp v86, v156, v38 row_newbcast:2 row_mask:0xf bank_mask:0xf// 0000000060C4: 0AAC4CFA FF01529C
	v_mul_f32_dpp v87, v156, v39 row_newbcast:3 row_mask:0xf bank_mask:0xf// 0000000060CC: 0AAE4EFA FF01539C
	v_mul_f32_dpp v88, v156, v40 row_newbcast:4 row_mask:0xf bank_mask:0xf// 0000000060D4: 0AB050FA FF01549C
	v_mul_f32_dpp v89, v156, v41 row_newbcast:5 row_mask:0xf bank_mask:0xf// 0000000060DC: 0AB252FA FF01559C
	v_mul_f32_dpp v90, v156, v42 row_newbcast:6 row_mask:0xf bank_mask:0xf// 0000000060E4: 0AB454FA FF01569C
	v_mul_f32_dpp v91, v156, v43 row_newbcast:7 row_mask:0xf bank_mask:0xf// 0000000060EC: 0AB656FA FF01579C
	v_mul_f32_dpp v92, v156, v44 row_newbcast:8 row_mask:0xf bank_mask:0xf// 0000000060F4: 0AB858FA FF01589C
	v_mul_f32_dpp v93, v156, v45 row_newbcast:9 row_mask:0xf bank_mask:0xf// 0000000060FC: 0ABA5AFA FF01599C
	v_mul_f32_dpp v94, v156, v46 row_newbcast:10 row_mask:0xf bank_mask:0xf// 000000006104: 0ABC5CFA FF015A9C
	v_mul_f32_dpp v95, v156, v47 row_newbcast:11 row_mask:0xf bank_mask:0xf// 00000000610C: 0ABE5EFA FF015B9C
	v_mul_f32_dpp v96, v156, v48 row_newbcast:12 row_mask:0xf bank_mask:0xf// 000000006114: 0AC060FA FF015C9C
	v_mul_f32_dpp v97, v156, v49 row_newbcast:13 row_mask:0xf bank_mask:0xf// 00000000611C: 0AC262FA FF015D9C
	v_mul_f32_dpp v98, v156, v50 row_newbcast:14 row_mask:0xf bank_mask:0xf// 000000006124: 0AC464FA FF015E9C
	v_mul_f32_dpp v99, v156, v51 row_newbcast:15 row_mask:0xf bank_mask:0xf// 00000000612C: 0AC666FA FF015F9C
	buffer_load_dword v155, v235, s[20:23], 0 offen            // 000000006134: E0501000 80059BEB
	v_sub_f32_e32 v170, v164, v167                             // 00000000613C: 05554FA4
	v_cmp_eq_u32_e64 s[98:99], v222, v164                      // 000000006140: D0CA0062 000349DE
	v_cndmask_b32_e64 v170, v170, 0, s[98:99]                  // 000000006148: D10000AA 018901AA
	v_mov_b32_e32 v164, v167                                   // 000000006150: 7F4803A7
	v_mul_f32_e32 v170, s46, v170                              // 000000006154: 0B55542E
	v_exp_f32_e32 v170, v170                                   // 000000006158: 7F5441AA
	v_sub_f32_e32 v172, v165, v168                             // 00000000615C: 055951A5
	v_cmp_eq_u32_e64 s[98:99], v222, v165                      // 000000006160: D0CA0062 00034BDE
	v_cndmask_b32_e64 v172, v172, 0, s[98:99]                  // 000000006168: D10000AC 018901AC
	v_mov_b32_e32 v165, v168                                   // 000000006170: 7F4A03A8
	v_mul_f32_e32 v172, s46, v172                              // 000000006174: 0B59582E
	v_exp_f32_e32 v172, v172                                   // 000000006178: 7F5841AC
	v_sub_f32_e32 v174, v166, v169                             // 00000000617C: 055D53A6
	v_cmp_eq_u32_e64 s[98:99], v222, v166                      // 000000006180: D0CA0062 00034DDE
	v_cndmask_b32_e64 v174, v174, 0, s[98:99]                  // 000000006188: D10000AE 018901AE
	v_mov_b32_e32 v166, v169                                   // 000000006190: 7F4C03A9
	v_mul_f32_e32 v174, s46, v174                              // 000000006194: 0B5D5C2E
	v_exp_f32_e32 v174, v174                                   // 000000006198: 7F5C41AE
	v_mov_b32_e32 v171, v170                                   // 00000000619C: 7F5603AA
	v_mov_b32_e32 v173, v172                                   // 0000000061A0: 7F5A03AC
	v_mov_b32_e32 v175, v174                                   // 0000000061A4: 7F5E03AE
	s_waitcnt lgkmcnt(0)                                       // 0000000061A8: BF8CC07F
	s_barrier                                                  // 0000000061AC: BF8A0000
	buffer_load_dword v157, v236, s[24:27], 0 offen            // 0000000061B0: E0501000 80069DEC
	v_mul_f32_e32 v176, v170, v176                             // 0000000061B8: 0B6161AA
	v_mov_b32_e32 v177, 0                                      // 0000000061BC: 7F620280
	v_pk_add_f32 v[176:177], v[4:5], v[176:177]                // 0000000061C0: D3B240B0 18036104
	v_pk_add_f32 v[176:177], v[6:7], v[176:177]                // 0000000061C8: D3B240B0 18036106
	v_pk_add_f32 v[176:177], v[8:9], v[176:177]                // 0000000061D0: D3B240B0 18036108
	v_pk_add_f32 v[176:177], v[10:11], v[176:177]              // 0000000061D8: D3B240B0 1803610A
	v_pk_add_f32 v[176:177], v[12:13], v[176:177]              // 0000000061E0: D3B240B0 1803610C
	v_pk_add_f32 v[176:177], v[14:15], v[176:177]              // 0000000061E8: D3B240B0 1803610E
	v_pk_add_f32 v[176:177], v[16:17], v[176:177]              // 0000000061F0: D3B240B0 18036110
	v_pk_add_f32 v[176:177], v[18:19], v[176:177]              // 0000000061F8: D3B240B0 18036112
	v_add_f32_e32 v176, v177, v176                             // 000000006200: 036161B1
	v_mul_f32_e32 v178, v172, v178                             // 000000006204: 0B6565AC
	v_mov_b32_e32 v179, 0                                      // 000000006208: 7F660280
	v_pk_add_f32 v[178:179], v[20:21], v[178:179]              // 00000000620C: D3B240B2 18036514
	v_pk_add_f32 v[178:179], v[22:23], v[178:179]              // 000000006214: D3B240B2 18036516
	v_pk_add_f32 v[178:179], v[24:25], v[178:179]              // 00000000621C: D3B240B2 18036518
	v_pk_add_f32 v[178:179], v[26:27], v[178:179]              // 000000006224: D3B240B2 1803651A
	v_pk_add_f32 v[178:179], v[28:29], v[178:179]              // 00000000622C: D3B240B2 1803651C
	v_pk_add_f32 v[178:179], v[30:31], v[178:179]              // 000000006234: D3B240B2 1803651E
	v_pk_add_f32 v[178:179], v[32:33], v[178:179]              // 00000000623C: D3B240B2 18036520
	v_pk_add_f32 v[178:179], v[34:35], v[178:179]              // 000000006244: D3B240B2 18036522
	v_add_f32_e32 v178, v179, v178                             // 00000000624C: 036565B3
	v_mul_f32_e32 v180, v174, v180                             // 000000006250: 0B6969AE
	v_mov_b32_e32 v181, 0                                      // 000000006254: 7F6A0280
	v_pk_add_f32 v[180:181], v[36:37], v[180:181]              // 000000006258: D3B240B4 18036924
	v_pk_add_f32 v[180:181], v[38:39], v[180:181]              // 000000006260: D3B240B4 18036926
	;; [unrolled: 1-line block ×3, first 2 shown]
	v_pk_add_f32 v[180:181], v[42:43], v[180:181]              // 000000006270: D3B240B4 1803692A
	v_pk_add_f32 v[180:181], v[44:45], v[180:181]              // 000000006278: D3B240B4 1803692C
	v_pk_add_f32 v[180:181], v[46:47], v[180:181]              // 000000006280: D3B240B4 1803692E
	v_pk_add_f32 v[180:181], v[48:49], v[180:181]              // 000000006288: D3B240B4 18036930
	v_pk_add_f32 v[180:181], v[50:51], v[180:181]              // 000000006290: D3B240B4 18036932
	v_add_f32_e32 v180, v181, v180                             // 000000006298: 036969B5
	s_waitcnt lgkmcnt(0)                                       // 00000000629C: BF8CC07F
	v_sub_f32_e32 v182, v182, v164                             // 0000000062A0: 056D49B6
	v_sub_f32_e32 v183, v183, v165                             // 0000000062A4: 056F4BB7
	v_sub_f32_e32 v184, v184, v166                             // 0000000062A8: 05714DB8
	v_mul_f32_e32 v182, s46, v182                              // 0000000062AC: 0B6D6C2E
	v_mul_f32_e32 v183, s46, v183                              // 0000000062B0: 0B6F6E2E
	v_mul_f32_e32 v184, s46, v184                              // 0000000062B4: 0B71702E
	v_exp_f32_e32 v182, v182                                   // 0000000062B8: 7F6C41B6
	v_exp_f32_e32 v183, v183                                   // 0000000062BC: 7F6E41B7
	v_exp_f32_e32 v184, v184                                   // 0000000062C0: 7F7041B8
	v_mul_f32_e32 v182, v156, v182                             // 0000000062C4: 0B6D6D9C
	v_mul_f32_e32 v183, v156, v183                             // 0000000062C8: 0B6F6F9C
	v_mul_f32_e32 v184, v156, v184                             // 0000000062CC: 0B71719C
	v_add_f32_e32 v182, 0x3089705f, v182                       // 0000000062D0: 036D6CFF 3089705F
	v_add_f32_e32 v183, 0x3089705f, v183                       // 0000000062D8: 036F6EFF 3089705F
	v_add_f32_e32 v184, 0x3089705f, v184                       // 0000000062E0: 037170FF 3089705F
	v_rcp_f32_e32 v182, v182                                   // 0000000062E8: 7F6C45B6
	v_rcp_f32_e32 v183, v183                                   // 0000000062EC: 7F6E45B7
	v_rcp_f32_e32 v184, v184                                   // 0000000062F0: 7F7045B8
	v_mul_f32_e32 v182, 0x43700000, v182                       // 0000000062F4: 0B6D6CFF 43700000
	v_mul_f32_e32 v183, 0x43700000, v183                       // 0000000062FC: 0B6F6EFF 43700000
	v_mul_f32_e32 v184, 0x43700000, v184                       // 000000006304: 0B7170FF 43700000
	v_mov_b32_e32 v186, v184                                   // 00000000630C: 7F7403B8
	v_mov_b32_e32 v187, v184                                   // 000000006310: 7F7603B8
	v_mov_b32_e32 v184, v183                                   // 000000006314: 7F7003B7
	v_mov_b32_e32 v185, v183                                   // 000000006318: 7F7203B7
	v_mov_b32_e32 v183, v182                                   // 00000000631C: 7F6E03B6
	v_pk_mul_f32 v[4:5], v[182:183], v[52:53]                  // 000000006320: D3B14004 180269B6
	v_pk_mul_f32 v[6:7], v[182:183], v[54:55]                  // 000000006328: D3B14006 18026DB6
	v_pk_mul_f32 v[8:9], v[182:183], v[56:57]                  // 000000006330: D3B14008 180271B6
	v_pk_mul_f32 v[10:11], v[182:183], v[58:59]                // 000000006338: D3B1400A 180275B6
	v_pk_mul_f32 v[12:13], v[182:183], v[60:61]                // 000000006340: D3B1400C 180279B6
	v_pk_mul_f32 v[14:15], v[182:183], v[62:63]                // 000000006348: D3B1400E 18027DB6
	v_pk_mul_f32 v[16:17], v[182:183], v[64:65]                // 000000006350: D3B14010 180281B6
	v_pk_mul_f32 v[18:19], v[182:183], v[66:67]                // 000000006358: D3B14012 180285B6
	v_pk_mul_f32 v[20:21], v[184:185], v[68:69]                // 000000006360: D3B14014 180289B8
	v_pk_mul_f32 v[22:23], v[184:185], v[70:71]                // 000000006368: D3B14016 18028DB8
	v_pk_mul_f32 v[24:25], v[184:185], v[72:73]                // 000000006370: D3B14018 180291B8
	v_pk_mul_f32 v[26:27], v[184:185], v[74:75]                // 000000006378: D3B1401A 180295B8
	v_pk_mul_f32 v[28:29], v[184:185], v[76:77]                // 000000006380: D3B1401C 180299B8
	v_pk_mul_f32 v[30:31], v[184:185], v[78:79]                // 000000006388: D3B1401E 18029DB8
	v_pk_mul_f32 v[32:33], v[184:185], v[80:81]                // 000000006390: D3B14020 1802A1B8
	v_pk_mul_f32 v[34:35], v[184:185], v[82:83]                // 000000006398: D3B14022 1802A5B8
	v_pk_mul_f32 v[36:37], v[186:187], v[84:85]                // 0000000063A0: D3B14024 1802A9BA
	v_pk_mul_f32 v[38:39], v[186:187], v[86:87]                // 0000000063A8: D3B14026 1802ADBA
	v_pk_mul_f32 v[40:41], v[186:187], v[88:89]                // 0000000063B0: D3B14028 1802B1BA
	v_pk_mul_f32 v[42:43], v[186:187], v[90:91]                // 0000000063B8: D3B1402A 1802B5BA
	v_pk_mul_f32 v[44:45], v[186:187], v[92:93]                // 0000000063C0: D3B1402C 1802B9BA
	v_pk_mul_f32 v[46:47], v[186:187], v[94:95]                // 0000000063C8: D3B1402E 1802BDBA
	v_pk_mul_f32 v[48:49], v[186:187], v[96:97]                // 0000000063D0: D3B14030 1802C1BA
	v_pk_mul_f32 v[50:51], v[186:187], v[98:99]                // 0000000063D8: D3B14032 1802C5BA
	v_cvt_pk_fp8_f32 v4, v4, v5                                // 0000000063E0: D2A20004 00020B04
	v_cvt_pk_fp8_f32 v4, v6, v7 op_sel:[0,0,1]                 // 0000000063E8: D2A24004 00020F06
	v_cvt_pk_fp8_f32 v5, v8, v9                                // 0000000063F0: D2A20005 00021308
	v_cvt_pk_fp8_f32 v5, v10, v11 op_sel:[0,0,1]               // 0000000063F8: D2A24005 0002170A
	v_cvt_pk_fp8_f32 v6, v12, v13                              // 000000006400: D2A20006 00021B0C
	v_cvt_pk_fp8_f32 v6, v14, v15 op_sel:[0,0,1]               // 000000006408: D2A24006 00021F0E
	v_cvt_pk_fp8_f32 v7, v16, v17                              // 000000006410: D2A20007 00022310
	v_cvt_pk_fp8_f32 v7, v18, v19 op_sel:[0,0,1]               // 000000006418: D2A24007 00022712
	v_cvt_pk_fp8_f32 v8, v20, v21                              // 000000006420: D2A20008 00022B14
	v_cvt_pk_fp8_f32 v8, v22, v23 op_sel:[0,0,1]               // 000000006428: D2A24008 00022F16
	v_cvt_pk_fp8_f32 v9, v24, v25                              // 000000006430: D2A20009 00023318
	v_cvt_pk_fp8_f32 v9, v26, v27 op_sel:[0,0,1]               // 000000006438: D2A24009 0002371A
	v_cvt_pk_fp8_f32 v10, v28, v29                             // 000000006440: D2A2000A 00023B1C
	v_cvt_pk_fp8_f32 v10, v30, v31 op_sel:[0,0,1]              // 000000006448: D2A2400A 00023F1E
	v_cvt_pk_fp8_f32 v11, v32, v33                             // 000000006450: D2A2000B 00024320
	v_cvt_pk_fp8_f32 v11, v34, v35 op_sel:[0,0,1]              // 000000006458: D2A2400B 00024722
	v_cvt_pk_fp8_f32 v12, v36, v37                             // 000000006460: D2A2000C 00024B24
	v_cvt_pk_fp8_f32 v12, v38, v39 op_sel:[0,0,1]              // 000000006468: D2A2400C 00024F26
	v_cvt_pk_fp8_f32 v13, v40, v41                             // 000000006470: D2A2000D 00025328
	v_cvt_pk_fp8_f32 v13, v42, v43 op_sel:[0,0,1]              // 000000006478: D2A2400D 0002572A
	v_cvt_pk_fp8_f32 v14, v44, v45                             // 000000006480: D2A2000E 00025B2C
	v_cvt_pk_fp8_f32 v14, v46, v47 op_sel:[0,0,1]              // 000000006488: D2A2400E 00025F2E
	v_cvt_pk_fp8_f32 v15, v48, v49                             // 000000006490: D2A2000F 00026330
	v_cvt_pk_fp8_f32 v15, v50, v51 op_sel:[0,0,1]              // 000000006498: D2A2400F 00026732
	ds_write_b32 v251, v4 offset:8192                          // 0000000064A0: D81A2000 000004FB
	ds_write_b32 v251, v5 offset:9216                          // 0000000064A8: D81A2400 000005FB
	ds_write_b32 v251, v6 offset:10240                         // 0000000064B0: D81A2800 000006FB
	ds_write_b32 v251, v7 offset:11264                         // 0000000064B8: D81A2C00 000007FB
	ds_write_b32 v251, v8 offset:12288                         // 0000000064C0: D81A3000 000008FB
	ds_write_b32 v251, v9 offset:13312                         // 0000000064C8: D81A3400 000009FB
	ds_write_b32 v251, v10 offset:14336                        // 0000000064D0: D81A3800 00000AFB
	ds_write_b32 v251, v11 offset:15360                        // 0000000064D8: D81A3C00 00000BFB
	ds_write_b32 v251, v12 offset:16384                        // 0000000064E0: D81A4000 00000CFB
	ds_write_b32 v251, v13 offset:17408                        // 0000000064E8: D81A4400 00000DFB
	ds_write_b32 v251, v14 offset:18432                        // 0000000064F0: D81A4800 00000EFB
	ds_write_b32 v251, v15 offset:19456                        // 0000000064F8: D81A4C00 00000FFB
	v_rcp_f32_e32 v158, v182                                   // 000000006500: 7F3C45B6
	v_rcp_f32_e32 v160, v184                                   // 000000006504: 7F4045B8
	v_rcp_f32_e32 v162, v186                                   // 000000006508: 7F4445BA
	v_mov_b32_e32 v159, v158                                   // 00000000650C: 7F3E039E
	v_mov_b32_e32 v161, v160                                   // 000000006510: 7F4203A0
	v_mov_b32_e32 v163, v162                                   // 000000006514: 7F4603A2
	v_pk_add_f32 v[124:125], v[124:125], v[100:101]            // 000000006518: D3B2407C 1802C97C
	v_pk_add_f32 v[126:127], v[126:127], v[102:103]            // 000000006520: D3B2407E 1802CD7E
	v_pk_add_f32 v[128:129], v[128:129], v[104:105]            // 000000006528: D3B24080 1802D180
	v_pk_add_f32 v[130:131], v[130:131], v[106:107]            // 000000006530: D3B24082 1802D582
	v_pk_add_f32 v[132:133], v[132:133], v[108:109]            // 000000006538: D3B24084 1802D984
	v_pk_add_f32 v[134:135], v[134:135], v[110:111]            // 000000006540: D3B24086 1802DD86
	v_pk_add_f32 v[136:137], v[136:137], v[112:113]            // 000000006548: D3B24088 1802E188
	v_pk_add_f32 v[138:139], v[138:139], v[114:115]            // 000000006550: D3B2408A 1802E58A
	v_pk_add_f32 v[140:141], v[140:141], v[116:117]            // 000000006558: D3B2408C 1802E98C
	v_pk_add_f32 v[142:143], v[142:143], v[118:119]            // 000000006560: D3B2408E 1802ED8E
	v_pk_add_f32 v[144:145], v[144:145], v[120:121]            // 000000006568: D3B24090 1802F190
	v_pk_add_f32 v[146:147], v[146:147], v[122:123]            // 000000006570: D3B24092 1802F592
	s_waitcnt lgkmcnt(0)                                       // 000000006578: BF8CC07F
	s_barrier                                                  // 00000000657C: BF8A0000
	ds_read_b128 v[4:7], v252 offset:8192                      // 000000006580: D9FE2000 040000FC
	ds_read_b128 v[8:11], v252 offset:9216                     // 000000006588: D9FE2400 080000FC
	ds_read_b128 v[12:15], v252 offset:10240                   // 000000006590: D9FE2800 0C0000FC
	ds_read_b128 v[16:19], v252 offset:11264                   // 000000006598: D9FE2C00 100000FC
	ds_read_b128 v[20:23], v252 offset:12288                   // 0000000065A0: D9FE3000 140000FC
	ds_read_b128 v[24:27], v252 offset:13312                   // 0000000065A8: D9FE3400 180000FC
	ds_read_b128 v[28:31], v252 offset:14336                   // 0000000065B0: D9FE3800 1C0000FC
	ds_read_b128 v[32:35], v252 offset:15360                   // 0000000065B8: D9FE3C00 200000FC
	ds_read_b128 v[36:39], v252 offset:16384                   // 0000000065C0: D9FE4000 240000FC
	ds_read_b128 v[40:43], v252 offset:17408                   // 0000000065C8: D9FE4400 280000FC
	ds_read_b128 v[44:47], v252 offset:18432                   // 0000000065D0: D9FE4800 2C0000FC
	ds_read_b128 v[48:51], v252 offset:19456                   // 0000000065D8: D9FE4C00 300000FC
	s_waitcnt vmcnt(10)                                        // 0000000065E0: BF8C0F7A
	s_waitcnt lgkmcnt(11)                                      // 0000000065E4: BF8CCB7F
	v_mfma_f32_16x16x32_fp8_fp8 v[100:103], a[88:89], v[4:5], 0// 0000000065E8: D3F30064 0A020958
	v_mfma_f32_16x16x32_fp8_fp8 v[104:107], a[104:105], v[4:5], 0// 0000000065F0: D3F30068 0A020968
	v_mfma_f32_16x16x32_fp8_fp8 v[100:103], a[90:91], v[6:7], v[100:103]// 0000000065F8: D3F30064 0D920D5A
	buffer_load_dwordx4 a[120:123], v231, s[16:19], 0 offen    // 000000006600: E05C1000 808478E7
	v_mfma_f32_16x16x32_fp8_fp8 v[104:107], a[106:107], v[6:7], v[104:107]// 000000006608: D3F30068 0DA20D6A
	s_waitcnt lgkmcnt(10)                                      // 000000006610: BF8CCA7F
	v_mfma_f32_16x16x32_fp8_fp8 v[100:103], a[92:93], v[8:9], v[100:103]// 000000006614: D3F30064 0D92115C
	v_mfma_f32_16x16x32_fp8_fp8 v[104:107], a[108:109], v[8:9], v[104:107]// 00000000661C: D3F30068 0DA2116C
	v_mfma_f32_16x16x32_fp8_fp8 v[100:103], a[94:95], v[10:11], v[100:103]// 000000006624: D3F30064 0D92155E
	buffer_load_dwordx4 a[124:127], v232, s[16:19], 0 offen    // 00000000662C: E05C1000 80847CE8
	v_mfma_f32_16x16x32_fp8_fp8 v[104:107], a[110:111], v[10:11], v[104:107]// 000000006634: D3F30068 0DA2156E
	s_waitcnt lgkmcnt(9)                                       // 00000000663C: BF8CC97F
	v_mfma_f32_16x16x32_fp8_fp8 v[100:103], a[96:97], v[12:13], v[100:103]// 000000006640: D3F30064 0D921960
	v_mfma_f32_16x16x32_fp8_fp8 v[104:107], a[112:113], v[12:13], v[104:107]// 000000006648: D3F30068 0DA21970
	v_mfma_f32_16x16x32_fp8_fp8 v[100:103], a[98:99], v[14:15], v[100:103]// 000000006650: D3F30064 0D921D62
	buffer_load_dwordx4 a[128:131], v233, s[16:19], 0 offen    // 000000006658: E05C1000 808480E9
	v_mfma_f32_16x16x32_fp8_fp8 v[104:107], a[114:115], v[14:15], v[104:107]// 000000006660: D3F30068 0DA21D72
	s_waitcnt lgkmcnt(8)                                       // 000000006668: BF8CC87F
	v_mfma_f32_16x16x32_fp8_fp8 v[100:103], a[100:101], v[16:17], v[100:103]// 00000000666C: D3F30064 0D922164
	v_mfma_f32_16x16x32_fp8_fp8 v[104:107], a[116:117], v[16:17], v[104:107]// 000000006674: D3F30068 0DA22174
	v_mfma_f32_16x16x32_fp8_fp8 v[100:103], a[102:103], v[18:19], v[100:103]// 00000000667C: D3F30064 0D922566
	buffer_load_dwordx4 a[132:135], v234, s[16:19], 0 offen    // 000000006684: E05C1000 808484EA
	v_mfma_f32_16x16x32_fp8_fp8 v[104:107], a[118:119], v[18:19], v[104:107]// 00000000668C: D3F30068 0DA22576
	s_waitcnt lgkmcnt(7)                                       // 000000006694: BF8CC77F
	v_mfma_f32_16x16x32_fp8_fp8 v[108:111], a[88:89], v[20:21], 0// 000000006698: D3F3006C 0A022958
	v_mfma_f32_16x16x32_fp8_fp8 v[112:115], a[104:105], v[20:21], 0// 0000000066A0: D3F30070 0A022968
	v_mfma_f32_16x16x32_fp8_fp8 v[108:111], a[90:91], v[22:23], v[108:111]// 0000000066A8: D3F3006C 0DB22D5A
	buffer_load_dwordx4 a[136:139], v231, s[16:19], 0 offen offset:1024// 0000000066B0: E05C1400 808488E7
	v_mfma_f32_16x16x32_fp8_fp8 v[112:115], a[106:107], v[22:23], v[112:115]// 0000000066B8: D3F30070 0DC22D6A
	s_waitcnt lgkmcnt(6)                                       // 0000000066C0: BF8CC67F
	v_mfma_f32_16x16x32_fp8_fp8 v[108:111], a[92:93], v[24:25], v[108:111]// 0000000066C4: D3F3006C 0DB2315C
	v_mfma_f32_16x16x32_fp8_fp8 v[112:115], a[108:109], v[24:25], v[112:115]// 0000000066CC: D3F30070 0DC2316C
	v_mfma_f32_16x16x32_fp8_fp8 v[108:111], a[94:95], v[26:27], v[108:111]// 0000000066D4: D3F3006C 0DB2355E
	buffer_load_dwordx4 a[140:143], v232, s[16:19], 0 offen offset:1024// 0000000066DC: E05C1400 80848CE8
	v_mfma_f32_16x16x32_fp8_fp8 v[112:115], a[110:111], v[26:27], v[112:115]// 0000000066E4: D3F30070 0DC2356E
	s_waitcnt lgkmcnt(5)                                       // 0000000066EC: BF8CC57F
	v_mfma_f32_16x16x32_fp8_fp8 v[108:111], a[96:97], v[28:29], v[108:111]// 0000000066F0: D3F3006C 0DB23960
	v_mfma_f32_16x16x32_fp8_fp8 v[112:115], a[112:113], v[28:29], v[112:115]// 0000000066F8: D3F30070 0DC23970
	v_mfma_f32_16x16x32_fp8_fp8 v[108:111], a[98:99], v[30:31], v[108:111]// 000000006700: D3F3006C 0DB23D62
	buffer_load_dwordx4 a[144:147], v233, s[16:19], 0 offen offset:1024// 000000006708: E05C1400 808490E9
	v_mfma_f32_16x16x32_fp8_fp8 v[112:115], a[114:115], v[30:31], v[112:115]// 000000006710: D3F30070 0DC23D72
	s_waitcnt lgkmcnt(4)                                       // 000000006718: BF8CC47F
	v_mfma_f32_16x16x32_fp8_fp8 v[108:111], a[100:101], v[32:33], v[108:111]// 00000000671C: D3F3006C 0DB24164
	v_mfma_f32_16x16x32_fp8_fp8 v[112:115], a[116:117], v[32:33], v[112:115]// 000000006724: D3F30070 0DC24174
	v_mfma_f32_16x16x32_fp8_fp8 v[108:111], a[102:103], v[34:35], v[108:111]// 00000000672C: D3F3006C 0DB24566
	buffer_load_dwordx4 a[148:151], v234, s[16:19], 0 offen offset:1024// 000000006734: E05C1400 808494EA
	v_mfma_f32_16x16x32_fp8_fp8 v[112:115], a[118:119], v[34:35], v[112:115]// 00000000673C: D3F30070 0DC24576
	s_waitcnt lgkmcnt(3)                                       // 000000006744: BF8CC37F
	v_mfma_f32_16x16x32_fp8_fp8 v[116:119], a[88:89], v[36:37], 0// 000000006748: D3F30074 0A024958
	v_mfma_f32_16x16x32_fp8_fp8 v[120:123], a[104:105], v[36:37], 0// 000000006750: D3F30078 0A024968
	v_mfma_f32_16x16x32_fp8_fp8 v[116:119], a[90:91], v[38:39], v[116:119]// 000000006758: D3F30074 0DD24D5A
	v_mfma_f32_16x16x32_fp8_fp8 v[120:123], a[106:107], v[38:39], v[120:123]// 000000006760: D3F30078 0DE24D6A
	s_waitcnt lgkmcnt(2)                                       // 000000006768: BF8CC27F
	v_mfma_f32_16x16x32_fp8_fp8 v[116:119], a[92:93], v[40:41], v[116:119]// 00000000676C: D3F30074 0DD2515C
	v_mfma_f32_16x16x32_fp8_fp8 v[120:123], a[108:109], v[40:41], v[120:123]// 000000006774: D3F30078 0DE2516C
	v_mfma_f32_16x16x32_fp8_fp8 v[116:119], a[94:95], v[42:43], v[116:119]// 00000000677C: D3F30074 0DD2555E
	v_mfma_f32_16x16x32_fp8_fp8 v[120:123], a[110:111], v[42:43], v[120:123]// 000000006784: D3F30078 0DE2556E
	s_waitcnt lgkmcnt(1)                                       // 00000000678C: BF8CC17F
	v_mfma_f32_16x16x32_fp8_fp8 v[116:119], a[96:97], v[44:45], v[116:119]// 000000006790: D3F30074 0DD25960
	v_mfma_f32_16x16x32_fp8_fp8 v[120:123], a[112:113], v[44:45], v[120:123]// 000000006798: D3F30078 0DE25970
	v_mfma_f32_16x16x32_fp8_fp8 v[116:119], a[98:99], v[46:47], v[116:119]// 0000000067A0: D3F30074 0DD25D62
	v_mfma_f32_16x16x32_fp8_fp8 v[120:123], a[114:115], v[46:47], v[120:123]// 0000000067A8: D3F30078 0DE25D72
	s_waitcnt lgkmcnt(0)                                       // 0000000067B0: BF8CC07F
	v_mfma_f32_16x16x32_fp8_fp8 v[116:119], a[100:101], v[48:49], v[116:119]// 0000000067B4: D3F30074 0DD26164
	v_mfma_f32_16x16x32_fp8_fp8 v[120:123], a[116:117], v[48:49], v[120:123]// 0000000067BC: D3F30078 0DE26174
	v_mfma_f32_16x16x32_fp8_fp8 v[116:119], a[102:103], v[50:51], v[116:119]// 0000000067C4: D3F30074 0DD26566
	v_mfma_f32_16x16x32_fp8_fp8 v[120:123], a[118:119], v[50:51], v[120:123]// 0000000067CC: D3F30078 0DE26576
	s_addk_i32 s64, 0x100                                      // 0000000067D4: B7400100
	s_cmp_lt_i32 s64, s63                                      // 0000000067D8: BF043F40
	s_cbranch_scc0 label_3ADF                                  // 0000000067DC: BF842A67
	s_waitcnt vmcnt(10)                                        // 0000000067E0: BF8C0F7A
	v_mfma_f32_16x16x32_fp8_fp8 v[4:7], a[56:57], a[0:1], 0    // 0000000067E4: D3F30004 1A020138
	s_add_u32 s12, s86, s69                                    // 0000000067EC: 800C4556
	s_addc_u32 s13, s87, 0                                     // 0000000067F0: 820D8057
	v_mfma_f32_16x16x32_fp8_fp8 v[4:7], a[58:59], a[2:3], v[4:7]// 0000000067F4: D3F30004 1C12053A
	s_add_u32 s16, s88, s70                                    // 0000000067FC: 80104658
	s_addc_u32 s17, s89, 0                                     // 000000006800: 82118059
	v_mfma_f32_16x16x32_fp8_fp8 v[4:7], a[60:61], a[4:5], v[4:7]// 000000006804: D3F30004 1C12093C
	buffer_load_dwordx4 a[24:27], v229, s[12:15], 0 offen      // 00000000680C: E05C1000 808318E5
	v_mfma_f32_16x16x32_fp8_fp8 v[4:7], a[62:63], a[6:7], v[4:7]// 000000006814: D3F30004 1C120D3E
	s_add_u32 s20, s90, s71                                    // 00000000681C: 8014475A
	s_addc_u32 s21, s91, 0                                     // 000000006820: 8215805B
	v_mfma_f32_16x16x32_fp8_fp8 v[8:11], a[64:65], a[0:1], 0   // 000000006824: D3F30008 1A020140
	s_add_u32 s24, s92, s71                                    // 00000000682C: 8018475C
	s_addc_u32 s25, s93, 0                                     // 000000006830: 8219805D
	v_mfma_f32_16x16x32_fp8_fp8 v[8:11], a[66:67], a[2:3], v[8:11]// 000000006834: D3F30008 1C220542
	s_add_u32 s69, s69, 0x1000                                 // 00000000683C: 8045FF45 00001000
	s_add_u32 s70, s70, 0x8000                                 // 000000006844: 8046FF46 00008000
	v_mfma_f32_16x16x32_fp8_fp8 v[8:11], a[68:69], a[4:5], v[8:11]// 00000000684C: D3F30008 1C220944
	buffer_load_dwordx4 a[28:31], v230, s[12:15], 0 offen      // 000000006854: E05C1000 80831CE6
	v_mfma_f32_16x16x32_fp8_fp8 v[8:11], a[70:71], a[6:7], v[8:11]// 00000000685C: D3F30008 1C220D46
	v_mfma_f32_16x16x32_fp8_fp8 v[12:15], a[72:73], a[0:1], 0  // 000000006864: D3F3000C 1A020148
	v_mfma_f32_16x16x32_fp8_fp8 v[12:15], a[74:75], a[2:3], v[12:15]// 00000000686C: D3F3000C 1C32054A
	v_mfma_f32_16x16x32_fp8_fp8 v[12:15], a[76:77], a[4:5], v[12:15]// 000000006874: D3F3000C 1C32094C
	buffer_load_dwordx4 a[32:35], v229, s[12:15], 0 offen offset:1024// 00000000687C: E05C1400 808320E5
	v_mfma_f32_16x16x32_fp8_fp8 v[12:15], a[78:79], a[6:7], v[12:15]// 000000006884: D3F3000C 1C320D4E
	v_mfma_f32_16x16x32_fp8_fp8 v[16:19], a[80:81], a[0:1], 0  // 00000000688C: D3F30010 1A020150
	v_mfma_f32_16x16x32_fp8_fp8 v[16:19], a[82:83], a[2:3], v[16:19]// 000000006894: D3F30010 1C420552
	v_mfma_f32_16x16x32_fp8_fp8 v[16:19], a[84:85], a[4:5], v[16:19]// 00000000689C: D3F30010 1C420954
	buffer_load_dwordx4 a[36:39], v230, s[12:15], 0 offen offset:1024// 0000000068A4: E05C1400 808324E6
	v_mfma_f32_16x16x32_fp8_fp8 v[16:19], a[86:87], a[6:7], v[16:19]// 0000000068AC: D3F30010 1C420D56
	v_mfma_f32_16x16x32_fp8_fp8 v[20:23], a[56:57], a[8:9], 0  // 0000000068B4: D3F30014 1A021138
	v_mfma_f32_16x16x32_fp8_fp8 v[20:23], a[58:59], a[10:11], v[20:23]// 0000000068BC: D3F30014 1C52153A
	v_mfma_f32_16x16x32_fp8_fp8 v[20:23], a[60:61], a[12:13], v[20:23]// 0000000068C4: D3F30014 1C52193C
	buffer_load_dwordx4 a[40:43], v229, s[12:15], 0 offen offset:2048// 0000000068CC: E05C1800 808328E5
	v_mfma_f32_16x16x32_fp8_fp8 v[20:23], a[62:63], a[14:15], v[20:23]// 0000000068D4: D3F30014 1C521D3E
	v_mfma_f32_16x16x32_fp8_fp8 v[24:27], a[64:65], a[8:9], 0  // 0000000068DC: D3F30018 1A021140
	v_mfma_f32_16x16x32_fp8_fp8 v[24:27], a[66:67], a[10:11], v[24:27]// 0000000068E4: D3F30018 1C621542
	v_mfma_f32_16x16x32_fp8_fp8 v[24:27], a[68:69], a[12:13], v[24:27]// 0000000068EC: D3F30018 1C621944
	buffer_load_dwordx4 a[44:47], v230, s[12:15], 0 offen offset:2048// 0000000068F4: E05C1800 80832CE6
	v_mfma_f32_16x16x32_fp8_fp8 v[24:27], a[70:71], a[14:15], v[24:27]// 0000000068FC: D3F30018 1C621D46
	v_mfma_f32_16x16x32_fp8_fp8 v[28:31], a[72:73], a[8:9], 0  // 000000006904: D3F3001C 1A021148
	v_mfma_f32_16x16x32_fp8_fp8 v[28:31], a[74:75], a[10:11], v[28:31]// 00000000690C: D3F3001C 1C72154A
	v_mfma_f32_16x16x32_fp8_fp8 v[28:31], a[76:77], a[12:13], v[28:31]// 000000006914: D3F3001C 1C72194C
	buffer_load_dwordx4 a[48:51], v229, s[12:15], 0 offen offset:3072// 00000000691C: E05C1C00 808330E5
	v_mfma_f32_16x16x32_fp8_fp8 v[28:31], a[78:79], a[14:15], v[28:31]// 000000006924: D3F3001C 1C721D4E
	v_mfma_f32_16x16x32_fp8_fp8 v[32:35], a[80:81], a[8:9], 0  // 00000000692C: D3F30020 1A021150
	v_mfma_f32_16x16x32_fp8_fp8 v[32:35], a[82:83], a[10:11], v[32:35]// 000000006934: D3F30020 1C821552
	v_mfma_f32_16x16x32_fp8_fp8 v[32:35], a[84:85], a[12:13], v[32:35]// 00000000693C: D3F30020 1C821954
	buffer_load_dwordx4 a[52:55], v230, s[12:15], 0 offen offset:3072// 000000006944: E05C1C00 808334E6
	v_mfma_f32_16x16x32_fp8_fp8 v[32:35], a[86:87], a[14:15], v[32:35]// 00000000694C: D3F30020 1C821D56
	v_mfma_f32_16x16x32_fp8_fp8 v[36:39], a[56:57], a[16:17], 0// 000000006954: D3F30024 1A022138
	v_mfma_f32_16x16x32_fp8_fp8 v[36:39], a[58:59], a[18:19], v[36:39]// 00000000695C: D3F30024 1C92253A
	v_mfma_f32_16x16x32_fp8_fp8 v[36:39], a[60:61], a[20:21], v[36:39]// 000000006964: D3F30024 1C92293C
	v_mfma_f32_16x16x32_fp8_fp8 v[36:39], a[62:63], a[22:23], v[36:39]// 00000000696C: D3F30024 1C922D3E
	v_mfma_f32_16x16x32_fp8_fp8 v[40:43], a[64:65], a[16:17], 0// 000000006974: D3F30028 1A022140
	v_mfma_f32_16x16x32_fp8_fp8 v[40:43], a[66:67], a[18:19], v[40:43]// 00000000697C: D3F30028 1CA22542
	v_mfma_f32_16x16x32_fp8_fp8 v[40:43], a[68:69], a[20:21], v[40:43]// 000000006984: D3F30028 1CA22944
	v_mfma_f32_16x16x32_fp8_fp8 v[40:43], a[70:71], a[22:23], v[40:43]// 00000000698C: D3F30028 1CA22D46
	v_mfma_f32_16x16x32_fp8_fp8 v[44:47], a[72:73], a[16:17], 0// 000000006994: D3F3002C 1A022148
	v_mfma_f32_16x16x32_fp8_fp8 v[44:47], a[74:75], a[18:19], v[44:47]// 00000000699C: D3F3002C 1CB2254A
	v_mfma_f32_16x16x32_fp8_fp8 v[44:47], a[76:77], a[20:21], v[44:47]// 0000000069A4: D3F3002C 1CB2294C
	v_mfma_f32_16x16x32_fp8_fp8 v[44:47], a[78:79], a[22:23], v[44:47]// 0000000069AC: D3F3002C 1CB22D4E
	v_mfma_f32_16x16x32_fp8_fp8 v[48:51], a[80:81], a[16:17], 0// 0000000069B4: D3F30030 1A022150
	v_mfma_f32_16x16x32_fp8_fp8 v[48:51], a[82:83], a[18:19], v[48:51]// 0000000069BC: D3F30030 1CC22552
	v_mfma_f32_16x16x32_fp8_fp8 v[48:51], a[84:85], a[20:21], v[48:51]// 0000000069C4: D3F30030 1CC22954
	v_mfma_f32_16x16x32_fp8_fp8 v[48:51], a[86:87], a[22:23], v[48:51]// 0000000069CC: D3F30030 1CC22D56
	s_waitcnt vmcnt(16)                                        // 0000000069D4: BF8C4F70
	v_pk_mul_f32 v[4:5], v[148:149], v[4:5]                    // 0000000069D8: D3B14004 18020994
	v_pk_mul_f32 v[6:7], v[148:149], v[6:7]                    // 0000000069E0: D3B14006 18020D94
	v_mul_f32_dpp v4, v155, v4 row_newbcast:0 row_mask:0xf bank_mask:0xf// 0000000069E8: 0A0808FA FF01509B
	v_mul_f32_dpp v5, v155, v5 row_newbcast:1 row_mask:0xf bank_mask:0xf// 0000000069F0: 0A0A0AFA FF01519B
	v_mul_f32_dpp v6, v155, v6 row_newbcast:2 row_mask:0xf bank_mask:0xf// 0000000069F8: 0A0C0CFA FF01529B
	v_mul_f32_dpp v7, v155, v7 row_newbcast:3 row_mask:0xf bank_mask:0xf// 000000006A00: 0A0E0EFA FF01539B
	v_pk_mul_f32 v[8:9], v[148:149], v[8:9]                    // 000000006A08: D3B14008 18021194
	v_pk_mul_f32 v[10:11], v[148:149], v[10:11]                // 000000006A10: D3B1400A 18021594
	v_mul_f32_dpp v8, v155, v8 row_newbcast:4 row_mask:0xf bank_mask:0xf// 000000006A18: 0A1010FA FF01549B
	v_mul_f32_dpp v9, v155, v9 row_newbcast:5 row_mask:0xf bank_mask:0xf// 000000006A20: 0A1212FA FF01559B
	v_mul_f32_dpp v10, v155, v10 row_newbcast:6 row_mask:0xf bank_mask:0xf// 000000006A28: 0A1414FA FF01569B
	v_mul_f32_dpp v11, v155, v11 row_newbcast:7 row_mask:0xf bank_mask:0xf// 000000006A30: 0A1616FA FF01579B
	v_pk_mul_f32 v[12:13], v[148:149], v[12:13]                // 000000006A38: D3B1400C 18021994
	v_pk_mul_f32 v[14:15], v[148:149], v[14:15]                // 000000006A40: D3B1400E 18021D94
	v_mul_f32_dpp v12, v155, v12 row_newbcast:8 row_mask:0xf bank_mask:0xf// 000000006A48: 0A1818FA FF01589B
	v_mul_f32_dpp v13, v155, v13 row_newbcast:9 row_mask:0xf bank_mask:0xf// 000000006A50: 0A1A1AFA FF01599B
	v_mul_f32_dpp v14, v155, v14 row_newbcast:10 row_mask:0xf bank_mask:0xf// 000000006A58: 0A1C1CFA FF015A9B
	v_mul_f32_dpp v15, v155, v15 row_newbcast:11 row_mask:0xf bank_mask:0xf// 000000006A60: 0A1E1EFA FF015B9B
	v_pk_mul_f32 v[16:17], v[148:149], v[16:17]                // 000000006A68: D3B14010 18022194
	v_pk_mul_f32 v[18:19], v[148:149], v[18:19]                // 000000006A70: D3B14012 18022594
	v_mul_f32_dpp v16, v155, v16 row_newbcast:12 row_mask:0xf bank_mask:0xf// 000000006A78: 0A2020FA FF015C9B
	v_mul_f32_dpp v17, v155, v17 row_newbcast:13 row_mask:0xf bank_mask:0xf// 000000006A80: 0A2222FA FF015D9B
	v_mul_f32_dpp v18, v155, v18 row_newbcast:14 row_mask:0xf bank_mask:0xf// 000000006A88: 0A2424FA FF015E9B
	v_mul_f32_dpp v19, v155, v19 row_newbcast:15 row_mask:0xf bank_mask:0xf// 000000006A90: 0A2626FA FF015F9B
	v_pk_mul_f32 v[20:21], v[150:151], v[20:21]                // 000000006A98: D3B14014 18022996
	v_pk_mul_f32 v[22:23], v[150:151], v[22:23]                // 000000006AA0: D3B14016 18022D96
	v_mul_f32_dpp v20, v155, v20 row_newbcast:0 row_mask:0xf bank_mask:0xf// 000000006AA8: 0A2828FA FF01509B
	v_mul_f32_dpp v21, v155, v21 row_newbcast:1 row_mask:0xf bank_mask:0xf// 000000006AB0: 0A2A2AFA FF01519B
	v_mul_f32_dpp v22, v155, v22 row_newbcast:2 row_mask:0xf bank_mask:0xf// 000000006AB8: 0A2C2CFA FF01529B
	v_mul_f32_dpp v23, v155, v23 row_newbcast:3 row_mask:0xf bank_mask:0xf// 000000006AC0: 0A2E2EFA FF01539B
	v_pk_mul_f32 v[24:25], v[150:151], v[24:25]                // 000000006AC8: D3B14018 18023196
	v_pk_mul_f32 v[26:27], v[150:151], v[26:27]                // 000000006AD0: D3B1401A 18023596
	v_mul_f32_dpp v24, v155, v24 row_newbcast:4 row_mask:0xf bank_mask:0xf// 000000006AD8: 0A3030FA FF01549B
	v_mul_f32_dpp v25, v155, v25 row_newbcast:5 row_mask:0xf bank_mask:0xf// 000000006AE0: 0A3232FA FF01559B
	v_mul_f32_dpp v26, v155, v26 row_newbcast:6 row_mask:0xf bank_mask:0xf// 000000006AE8: 0A3434FA FF01569B
	v_mul_f32_dpp v27, v155, v27 row_newbcast:7 row_mask:0xf bank_mask:0xf// 000000006AF0: 0A3636FA FF01579B
	v_pk_mul_f32 v[28:29], v[150:151], v[28:29]                // 000000006AF8: D3B1401C 18023996
	v_pk_mul_f32 v[30:31], v[150:151], v[30:31]                // 000000006B00: D3B1401E 18023D96
	v_mul_f32_dpp v28, v155, v28 row_newbcast:8 row_mask:0xf bank_mask:0xf// 000000006B08: 0A3838FA FF01589B
	v_mul_f32_dpp v29, v155, v29 row_newbcast:9 row_mask:0xf bank_mask:0xf// 000000006B10: 0A3A3AFA FF01599B
	v_mul_f32_dpp v30, v155, v30 row_newbcast:10 row_mask:0xf bank_mask:0xf// 000000006B18: 0A3C3CFA FF015A9B
	v_mul_f32_dpp v31, v155, v31 row_newbcast:11 row_mask:0xf bank_mask:0xf// 000000006B20: 0A3E3EFA FF015B9B
	v_pk_mul_f32 v[32:33], v[150:151], v[32:33]                // 000000006B28: D3B14020 18024196
	v_pk_mul_f32 v[34:35], v[150:151], v[34:35]                // 000000006B30: D3B14022 18024596
	v_mul_f32_dpp v32, v155, v32 row_newbcast:12 row_mask:0xf bank_mask:0xf// 000000006B38: 0A4040FA FF015C9B
	v_mul_f32_dpp v33, v155, v33 row_newbcast:13 row_mask:0xf bank_mask:0xf// 000000006B40: 0A4242FA FF015D9B
	v_mul_f32_dpp v34, v155, v34 row_newbcast:14 row_mask:0xf bank_mask:0xf// 000000006B48: 0A4444FA FF015E9B
	v_mul_f32_dpp v35, v155, v35 row_newbcast:15 row_mask:0xf bank_mask:0xf// 000000006B50: 0A4646FA FF015F9B
	v_pk_mul_f32 v[36:37], v[152:153], v[36:37]                // 000000006B58: D3B14024 18024998
	v_pk_mul_f32 v[38:39], v[152:153], v[38:39]                // 000000006B60: D3B14026 18024D98
	v_mul_f32_dpp v36, v155, v36 row_newbcast:0 row_mask:0xf bank_mask:0xf// 000000006B68: 0A4848FA FF01509B
	v_mul_f32_dpp v37, v155, v37 row_newbcast:1 row_mask:0xf bank_mask:0xf// 000000006B70: 0A4A4AFA FF01519B
	v_mul_f32_dpp v38, v155, v38 row_newbcast:2 row_mask:0xf bank_mask:0xf// 000000006B78: 0A4C4CFA FF01529B
	v_mul_f32_dpp v39, v155, v39 row_newbcast:3 row_mask:0xf bank_mask:0xf// 000000006B80: 0A4E4EFA FF01539B
	v_pk_mul_f32 v[40:41], v[152:153], v[40:41]                // 000000006B88: D3B14028 18025198
	v_pk_mul_f32 v[42:43], v[152:153], v[42:43]                // 000000006B90: D3B1402A 18025598
	v_mul_f32_dpp v40, v155, v40 row_newbcast:4 row_mask:0xf bank_mask:0xf// 000000006B98: 0A5050FA FF01549B
	v_mul_f32_dpp v41, v155, v41 row_newbcast:5 row_mask:0xf bank_mask:0xf// 000000006BA0: 0A5252FA FF01559B
	v_mul_f32_dpp v42, v155, v42 row_newbcast:6 row_mask:0xf bank_mask:0xf// 000000006BA8: 0A5454FA FF01569B
	v_mul_f32_dpp v43, v155, v43 row_newbcast:7 row_mask:0xf bank_mask:0xf// 000000006BB0: 0A5656FA FF01579B
	v_pk_mul_f32 v[44:45], v[152:153], v[44:45]                // 000000006BB8: D3B1402C 18025998
	v_pk_mul_f32 v[46:47], v[152:153], v[46:47]                // 000000006BC0: D3B1402E 18025D98
	v_mul_f32_dpp v44, v155, v44 row_newbcast:8 row_mask:0xf bank_mask:0xf// 000000006BC8: 0A5858FA FF01589B
	v_mul_f32_dpp v45, v155, v45 row_newbcast:9 row_mask:0xf bank_mask:0xf// 000000006BD0: 0A5A5AFA FF01599B
	v_mul_f32_dpp v46, v155, v46 row_newbcast:10 row_mask:0xf bank_mask:0xf// 000000006BD8: 0A5C5CFA FF015A9B
	v_mul_f32_dpp v47, v155, v47 row_newbcast:11 row_mask:0xf bank_mask:0xf// 000000006BE0: 0A5E5EFA FF015B9B
	v_pk_mul_f32 v[48:49], v[152:153], v[48:49]                // 000000006BE8: D3B14030 18026198
	v_pk_mul_f32 v[50:51], v[152:153], v[50:51]                // 000000006BF0: D3B14032 18026598
	v_mul_f32_dpp v48, v155, v48 row_newbcast:12 row_mask:0xf bank_mask:0xf// 000000006BF8: 0A6060FA FF015C9B
	v_mul_f32_dpp v49, v155, v49 row_newbcast:13 row_mask:0xf bank_mask:0xf// 000000006C00: 0A6262FA FF015D9B
	v_mul_f32_dpp v50, v155, v50 row_newbcast:14 row_mask:0xf bank_mask:0xf// 000000006C08: 0A6464FA FF015E9B
	v_mul_f32_dpp v51, v155, v51 row_newbcast:15 row_mask:0xf bank_mask:0xf// 000000006C10: 0A6666FA FF015F9B
	v_mov_b32_e32 v182, v4                                     // 000000006C18: 7F6C0304
	v_max3_f32 v182, v4, v5, v182                              // 000000006C1C: D1D300B6 06DA0B04
	v_max3_f32 v182, v6, v7, v182                              // 000000006C24: D1D300B6 06DA0F06
	v_max3_f32 v182, v8, v9, v182                              // 000000006C2C: D1D300B6 06DA1308
	v_max3_f32 v182, v10, v11, v182                            // 000000006C34: D1D300B6 06DA170A
	v_max3_f32 v182, v12, v13, v182                            // 000000006C3C: D1D300B6 06DA1B0C
	v_max3_f32 v182, v14, v15, v182                            // 000000006C44: D1D300B6 06DA1F0E
	v_max3_f32 v182, v16, v17, v182                            // 000000006C4C: D1D300B6 06DA2310
	v_max3_f32 v182, v18, v19, v182                            // 000000006C54: D1D300B6 06DA2712
	v_mov_b32_e32 v183, v20                                    // 000000006C5C: 7F6E0314
	v_max3_f32 v183, v20, v21, v183                            // 000000006C60: D1D300B7 06DE2B14
	v_max3_f32 v183, v22, v23, v183                            // 000000006C68: D1D300B7 06DE2F16
	v_max3_f32 v183, v24, v25, v183                            // 000000006C70: D1D300B7 06DE3318
	v_max3_f32 v183, v26, v27, v183                            // 000000006C78: D1D300B7 06DE371A
	v_max3_f32 v183, v28, v29, v183                            // 000000006C80: D1D300B7 06DE3B1C
	v_max3_f32 v183, v30, v31, v183                            // 000000006C88: D1D300B7 06DE3F1E
	v_max3_f32 v183, v32, v33, v183                            // 000000006C90: D1D300B7 06DE4320
	v_max3_f32 v183, v34, v35, v183                            // 000000006C98: D1D300B7 06DE4722
	v_mov_b32_e32 v184, v36                                    // 000000006CA0: 7F700324
	v_max3_f32 v184, v36, v37, v184                            // 000000006CA4: D1D300B8 06E24B24
	v_max3_f32 v184, v38, v39, v184                            // 000000006CAC: D1D300B8 06E24F26
	v_max3_f32 v184, v40, v41, v184                            // 000000006CB4: D1D300B8 06E25328
	v_max3_f32 v184, v42, v43, v184                            // 000000006CBC: D1D300B8 06E2572A
	v_max3_f32 v184, v44, v45, v184                            // 000000006CC4: D1D300B8 06E25B2C
	v_max3_f32 v184, v46, v47, v184                            // 000000006CCC: D1D300B8 06E25F2E
	v_max3_f32 v184, v48, v49, v184                            // 000000006CD4: D1D300B8 06E26330
	v_max3_f32 v184, v50, v51, v184                            // 000000006CDC: D1D300B8 06E26732
	ds_bpermute_b32 v188, v208, v182                           // 000000006CE4: D87E0000 BC00B6D0
	ds_bpermute_b32 v189, v209, v182                           // 000000006CEC: D87E0000 BD00B6D1
	ds_bpermute_b32 v190, v210, v182                           // 000000006CF4: D87E0000 BE00B6D2
	ds_bpermute_b32 v191, v208, v183                           // 000000006CFC: D87E0000 BF00B7D0
	ds_bpermute_b32 v192, v209, v183                           // 000000006D04: D87E0000 C000B7D1
	ds_bpermute_b32 v193, v210, v183                           // 000000006D0C: D87E0000 C100B7D2
	ds_bpermute_b32 v194, v208, v184                           // 000000006D14: D87E0000 C200B8D0
	ds_bpermute_b32 v195, v209, v184                           // 000000006D1C: D87E0000 C300B8D1
	ds_bpermute_b32 v196, v210, v184                           // 000000006D24: D87E0000 C400B8D2
	v_pk_mul_f32 v[124:125], v[170:171], v[124:125]            // 000000006D2C: D3B1407C 1802F9AA
	v_pk_mul_f32 v[126:127], v[170:171], v[126:127]            // 000000006D34: D3B1407E 1802FDAA
	v_pk_mul_f32 v[128:129], v[170:171], v[128:129]            // 000000006D3C: D3B14080 180301AA
	v_pk_mul_f32 v[130:131], v[170:171], v[130:131]            // 000000006D44: D3B14082 180305AA
	v_pk_mul_f32 v[132:133], v[172:173], v[132:133]            // 000000006D4C: D3B14084 180309AC
	v_pk_mul_f32 v[134:135], v[172:173], v[134:135]            // 000000006D54: D3B14086 18030DAC
	v_pk_mul_f32 v[136:137], v[172:173], v[136:137]            // 000000006D5C: D3B14088 180311AC
	v_pk_mul_f32 v[138:139], v[172:173], v[138:139]            // 000000006D64: D3B1408A 180315AC
	v_pk_mul_f32 v[140:141], v[174:175], v[140:141]            // 000000006D6C: D3B1408C 180319AE
	v_pk_mul_f32 v[142:143], v[174:175], v[142:143]            // 000000006D74: D3B1408E 18031DAE
	v_pk_mul_f32 v[144:145], v[174:175], v[144:145]            // 000000006D7C: D3B14090 180321AE
	v_pk_mul_f32 v[146:147], v[174:175], v[146:147]            // 000000006D84: D3B14092 180325AE
	s_waitcnt lgkmcnt(6)                                       // 000000006D8C: BF8CC67F
	v_max3_f32 v182, v188, v189, v182                          // 000000006D90: D1D300B6 06DB7BBC
	v_max_f32_e32 v182, v190, v182                             // 000000006D98: 176D6DBE
	s_waitcnt lgkmcnt(3)                                       // 000000006D9C: BF8CC37F
	v_max3_f32 v183, v191, v192, v183                          // 000000006DA0: D1D300B7 06DF81BF
	v_max_f32_e32 v183, v193, v183                             // 000000006DA8: 176F6FC1
	s_waitcnt lgkmcnt(0)                                       // 000000006DAC: BF8CC07F
	v_max3_f32 v184, v194, v195, v184                          // 000000006DB0: D1D300B8 06E387C2
	v_max_f32_e32 v184, v196, v184                             // 000000006DB8: 177171C4
	ds_write_b128 v249, v[182:185]                             // 000000006DBC: D9BE0000 0000B6F9
	s_waitcnt lgkmcnt(0)                                       // 000000006DC4: BF8CC07F
	s_barrier                                                  // 000000006DC8: BF8A0000
	ds_read_b128 v[188:191], v250                              // 000000006DCC: D9FE0000 BC0000FA
	ds_read_b128 v[192:195], v250 offset:256                   // 000000006DD4: D9FE0100 C00000FA
	ds_read_b128 v[196:199], v250 offset:512                   // 000000006DDC: D9FE0200 C40000FA
	ds_read_b128 v[200:203], v250 offset:768                   // 000000006DE4: D9FE0300 C80000FA
	v_pk_mul_f32 v[100:101], v[158:159], v[100:101]            // 000000006DEC: D3B14064 1802C99E
	v_pk_mul_f32 v[102:103], v[158:159], v[102:103]            // 000000006DF4: D3B14066 1802CD9E
	v_pk_mul_f32 v[104:105], v[158:159], v[104:105]            // 000000006DFC: D3B14068 1802D19E
	v_pk_mul_f32 v[106:107], v[158:159], v[106:107]            // 000000006E04: D3B1406A 1802D59E
	v_pk_mul_f32 v[108:109], v[160:161], v[108:109]            // 000000006E0C: D3B1406C 1802D9A0
	v_pk_mul_f32 v[110:111], v[160:161], v[110:111]            // 000000006E14: D3B1406E 1802DDA0
	v_pk_mul_f32 v[112:113], v[160:161], v[112:113]            // 000000006E1C: D3B14070 1802E1A0
	v_pk_mul_f32 v[114:115], v[160:161], v[114:115]            // 000000006E24: D3B14072 1802E5A0
	v_pk_mul_f32 v[116:117], v[162:163], v[116:117]            // 000000006E2C: D3B14074 1802E9A2
	v_pk_mul_f32 v[118:119], v[162:163], v[118:119]            // 000000006E34: D3B14076 1802EDA2
	v_pk_mul_f32 v[120:121], v[162:163], v[120:121]            // 000000006E3C: D3B14078 1802F1A2
	v_pk_mul_f32 v[122:123], v[162:163], v[122:123]            // 000000006E44: D3B1407A 1802F5A2
	s_waitcnt lgkmcnt(0)                                       // 000000006E4C: BF8CC07F
	v_max3_f32 v182, v188, v192, v182                          // 000000006E50: D1D300B6 06DB81BC
	v_max3_f32 v183, v189, v193, v183                          // 000000006E58: D1D300B7 06DF83BD
	v_max3_f32 v184, v190, v194, v184                          // 000000006E60: D1D300B8 06E385BE
	v_max3_f32 v182, v196, v200, v182                          // 000000006E68: D1D300B6 06DB91C4
	v_max3_f32 v183, v197, v201, v183                          // 000000006E70: D1D300B7 06DF93C5
	v_max3_f32 v184, v198, v202, v184                          // 000000006E78: D1D300B8 06E395C6
	v_max_f32_e32 v167, v182, v164                             // 000000006E80: 174F49B6
	v_mul_f32_e64 v204, -s46, v167                             // 000000006E84: D10500CC 20034E2E
	v_mov_b32_e32 v205, v204                                   // 000000006E8C: 7F9A03CC
	v_pk_fma_f32 v[4:5], v[4:5], s[46:47], v[204:205]          // 000000006E90: D3B04004 1F305D04
	v_pk_fma_f32 v[6:7], v[6:7], s[46:47], v[204:205]          // 000000006E98: D3B04006 1F305D06
	v_exp_f32_e32 v4, v4                                       // 000000006EA0: 7E084104
	v_exp_f32_e32 v5, v5                                       // 000000006EA4: 7E0A4105
	v_exp_f32_e32 v6, v6                                       // 000000006EA8: 7E0C4106
	v_exp_f32_e32 v7, v7                                       // 000000006EAC: 7E0E4107
	v_pk_fma_f32 v[8:9], v[8:9], s[46:47], v[204:205]          // 000000006EB0: D3B04008 1F305D08
	v_pk_fma_f32 v[10:11], v[10:11], s[46:47], v[204:205]      // 000000006EB8: D3B0400A 1F305D0A
	v_exp_f32_e32 v8, v8                                       // 000000006EC0: 7E104108
	v_exp_f32_e32 v9, v9                                       // 000000006EC4: 7E124109
	v_exp_f32_e32 v10, v10                                     // 000000006EC8: 7E14410A
	v_exp_f32_e32 v11, v11                                     // 000000006ECC: 7E16410B
	v_pk_fma_f32 v[12:13], v[12:13], s[46:47], v[204:205]      // 000000006ED0: D3B0400C 1F305D0C
	v_pk_fma_f32 v[14:15], v[14:15], s[46:47], v[204:205]      // 000000006ED8: D3B0400E 1F305D0E
	v_exp_f32_e32 v12, v12                                     // 000000006EE0: 7E18410C
	v_exp_f32_e32 v13, v13                                     // 000000006EE4: 7E1A410D
	v_exp_f32_e32 v14, v14                                     // 000000006EE8: 7E1C410E
	v_exp_f32_e32 v15, v15                                     // 000000006EEC: 7E1E410F
	v_pk_fma_f32 v[16:17], v[16:17], s[46:47], v[204:205]      // 000000006EF0: D3B04010 1F305D10
	v_pk_fma_f32 v[18:19], v[18:19], s[46:47], v[204:205]      // 000000006EF8: D3B04012 1F305D12
	v_exp_f32_e32 v16, v16                                     // 000000006F00: 7E204110
	v_exp_f32_e32 v17, v17                                     // 000000006F04: 7E224111
	v_exp_f32_e32 v18, v18                                     // 000000006F08: 7E244112
	v_exp_f32_e32 v19, v19                                     // 000000006F0C: 7E264113
	v_max_f32_e32 v168, v183, v165                             // 000000006F10: 17514BB7
	v_mul_f32_e64 v204, -s46, v168                             // 000000006F14: D10500CC 2003502E
	v_mov_b32_e32 v205, v204                                   // 000000006F1C: 7F9A03CC
	v_pk_fma_f32 v[20:21], v[20:21], s[46:47], v[204:205]      // 000000006F20: D3B04014 1F305D14
	v_pk_fma_f32 v[22:23], v[22:23], s[46:47], v[204:205]      // 000000006F28: D3B04016 1F305D16
	v_exp_f32_e32 v20, v20                                     // 000000006F30: 7E284114
	v_exp_f32_e32 v21, v21                                     // 000000006F34: 7E2A4115
	v_exp_f32_e32 v22, v22                                     // 000000006F38: 7E2C4116
	v_exp_f32_e32 v23, v23                                     // 000000006F3C: 7E2E4117
	v_pk_fma_f32 v[24:25], v[24:25], s[46:47], v[204:205]      // 000000006F40: D3B04018 1F305D18
	v_pk_fma_f32 v[26:27], v[26:27], s[46:47], v[204:205]      // 000000006F48: D3B0401A 1F305D1A
	v_exp_f32_e32 v24, v24                                     // 000000006F50: 7E304118
	v_exp_f32_e32 v25, v25                                     // 000000006F54: 7E324119
	v_exp_f32_e32 v26, v26                                     // 000000006F58: 7E34411A
	v_exp_f32_e32 v27, v27                                     // 000000006F5C: 7E36411B
	v_pk_fma_f32 v[28:29], v[28:29], s[46:47], v[204:205]      // 000000006F60: D3B0401C 1F305D1C
	v_pk_fma_f32 v[30:31], v[30:31], s[46:47], v[204:205]      // 000000006F68: D3B0401E 1F305D1E
	v_exp_f32_e32 v28, v28                                     // 000000006F70: 7E38411C
	v_exp_f32_e32 v29, v29                                     // 000000006F74: 7E3A411D
	v_exp_f32_e32 v30, v30                                     // 000000006F78: 7E3C411E
	v_exp_f32_e32 v31, v31                                     // 000000006F7C: 7E3E411F
	v_pk_fma_f32 v[32:33], v[32:33], s[46:47], v[204:205]      // 000000006F80: D3B04020 1F305D20
	v_pk_fma_f32 v[34:35], v[34:35], s[46:47], v[204:205]      // 000000006F88: D3B04022 1F305D22
	v_exp_f32_e32 v32, v32                                     // 000000006F90: 7E404120
	v_exp_f32_e32 v33, v33                                     // 000000006F94: 7E424121
	v_exp_f32_e32 v34, v34                                     // 000000006F98: 7E444122
	v_exp_f32_e32 v35, v35                                     // 000000006F9C: 7E464123
	v_max_f32_e32 v169, v184, v166                             // 000000006FA0: 17534DB8
	v_mul_f32_e64 v204, -s46, v169                             // 000000006FA4: D10500CC 2003522E
	v_mov_b32_e32 v205, v204                                   // 000000006FAC: 7F9A03CC
	v_pk_fma_f32 v[36:37], v[36:37], s[46:47], v[204:205]      // 000000006FB0: D3B04024 1F305D24
	v_pk_fma_f32 v[38:39], v[38:39], s[46:47], v[204:205]      // 000000006FB8: D3B04026 1F305D26
	v_exp_f32_e32 v36, v36                                     // 000000006FC0: 7E484124
	v_exp_f32_e32 v37, v37                                     // 000000006FC4: 7E4A4125
	v_exp_f32_e32 v38, v38                                     // 000000006FC8: 7E4C4126
	v_exp_f32_e32 v39, v39                                     // 000000006FCC: 7E4E4127
	v_pk_fma_f32 v[40:41], v[40:41], s[46:47], v[204:205]      // 000000006FD0: D3B04028 1F305D28
	v_pk_fma_f32 v[42:43], v[42:43], s[46:47], v[204:205]      // 000000006FD8: D3B0402A 1F305D2A
	v_exp_f32_e32 v40, v40                                     // 000000006FE0: 7E504128
	v_exp_f32_e32 v41, v41                                     // 000000006FE4: 7E524129
	v_exp_f32_e32 v42, v42                                     // 000000006FE8: 7E54412A
	v_exp_f32_e32 v43, v43                                     // 000000006FEC: 7E56412B
	v_pk_fma_f32 v[44:45], v[44:45], s[46:47], v[204:205]      // 000000006FF0: D3B0402C 1F305D2C
	v_pk_fma_f32 v[46:47], v[46:47], s[46:47], v[204:205]      // 000000006FF8: D3B0402E 1F305D2E
	v_exp_f32_e32 v44, v44                                     // 000000007000: 7E58412C
	v_exp_f32_e32 v45, v45                                     // 000000007004: 7E5A412D
	v_exp_f32_e32 v46, v46                                     // 000000007008: 7E5C412E
	v_exp_f32_e32 v47, v47                                     // 00000000700C: 7E5E412F
	v_pk_fma_f32 v[48:49], v[48:49], s[46:47], v[204:205]      // 000000007010: D3B04030 1F305D30
	v_pk_fma_f32 v[50:51], v[50:51], s[46:47], v[204:205]      // 000000007018: D3B04032 1F305D32
	v_exp_f32_e32 v48, v48                                     // 000000007020: 7E604130
	v_exp_f32_e32 v49, v49                                     // 000000007024: 7E624131
	v_exp_f32_e32 v50, v50                                     // 000000007028: 7E644132
	v_exp_f32_e32 v51, v51                                     // 00000000702C: 7E664133
	v_mul_f32_dpp v52, v157, v4 row_newbcast:0 row_mask:0xf bank_mask:0xf// 000000007030: 0A6808FA FF01509D
	v_mul_f32_dpp v53, v157, v5 row_newbcast:1 row_mask:0xf bank_mask:0xf// 000000007038: 0A6A0AFA FF01519D
	v_mul_f32_dpp v54, v157, v6 row_newbcast:2 row_mask:0xf bank_mask:0xf// 000000007040: 0A6C0CFA FF01529D
	v_mul_f32_dpp v55, v157, v7 row_newbcast:3 row_mask:0xf bank_mask:0xf// 000000007048: 0A6E0EFA FF01539D
	v_mul_f32_dpp v56, v157, v8 row_newbcast:4 row_mask:0xf bank_mask:0xf// 000000007050: 0A7010FA FF01549D
	v_mul_f32_dpp v57, v157, v9 row_newbcast:5 row_mask:0xf bank_mask:0xf// 000000007058: 0A7212FA FF01559D
	v_mul_f32_dpp v58, v157, v10 row_newbcast:6 row_mask:0xf bank_mask:0xf// 000000007060: 0A7414FA FF01569D
	v_mul_f32_dpp v59, v157, v11 row_newbcast:7 row_mask:0xf bank_mask:0xf// 000000007068: 0A7616FA FF01579D
	v_mul_f32_dpp v60, v157, v12 row_newbcast:8 row_mask:0xf bank_mask:0xf// 000000007070: 0A7818FA FF01589D
	v_mul_f32_dpp v61, v157, v13 row_newbcast:9 row_mask:0xf bank_mask:0xf// 000000007078: 0A7A1AFA FF01599D
	v_mul_f32_dpp v62, v157, v14 row_newbcast:10 row_mask:0xf bank_mask:0xf// 000000007080: 0A7C1CFA FF015A9D
	v_mul_f32_dpp v63, v157, v15 row_newbcast:11 row_mask:0xf bank_mask:0xf// 000000007088: 0A7E1EFA FF015B9D
	v_mul_f32_dpp v64, v157, v16 row_newbcast:12 row_mask:0xf bank_mask:0xf// 000000007090: 0A8020FA FF015C9D
	v_mul_f32_dpp v65, v157, v17 row_newbcast:13 row_mask:0xf bank_mask:0xf// 000000007098: 0A8222FA FF015D9D
	v_mul_f32_dpp v66, v157, v18 row_newbcast:14 row_mask:0xf bank_mask:0xf// 0000000070A0: 0A8424FA FF015E9D
	v_mul_f32_dpp v67, v157, v19 row_newbcast:15 row_mask:0xf bank_mask:0xf// 0000000070A8: 0A8626FA FF015F9D
	v_mul_f32_dpp v68, v157, v20 row_newbcast:0 row_mask:0xf bank_mask:0xf// 0000000070B0: 0A8828FA FF01509D
	v_mul_f32_dpp v69, v157, v21 row_newbcast:1 row_mask:0xf bank_mask:0xf// 0000000070B8: 0A8A2AFA FF01519D
	v_mul_f32_dpp v70, v157, v22 row_newbcast:2 row_mask:0xf bank_mask:0xf// 0000000070C0: 0A8C2CFA FF01529D
	v_mul_f32_dpp v71, v157, v23 row_newbcast:3 row_mask:0xf bank_mask:0xf// 0000000070C8: 0A8E2EFA FF01539D
	v_mul_f32_dpp v72, v157, v24 row_newbcast:4 row_mask:0xf bank_mask:0xf// 0000000070D0: 0A9030FA FF01549D
	v_mul_f32_dpp v73, v157, v25 row_newbcast:5 row_mask:0xf bank_mask:0xf// 0000000070D8: 0A9232FA FF01559D
	v_mul_f32_dpp v74, v157, v26 row_newbcast:6 row_mask:0xf bank_mask:0xf// 0000000070E0: 0A9434FA FF01569D
	v_mul_f32_dpp v75, v157, v27 row_newbcast:7 row_mask:0xf bank_mask:0xf// 0000000070E8: 0A9636FA FF01579D
	v_mul_f32_dpp v76, v157, v28 row_newbcast:8 row_mask:0xf bank_mask:0xf// 0000000070F0: 0A9838FA FF01589D
	v_mul_f32_dpp v77, v157, v29 row_newbcast:9 row_mask:0xf bank_mask:0xf// 0000000070F8: 0A9A3AFA FF01599D
	v_mul_f32_dpp v78, v157, v30 row_newbcast:10 row_mask:0xf bank_mask:0xf// 000000007100: 0A9C3CFA FF015A9D
	v_mul_f32_dpp v79, v157, v31 row_newbcast:11 row_mask:0xf bank_mask:0xf// 000000007108: 0A9E3EFA FF015B9D
	v_mul_f32_dpp v80, v157, v32 row_newbcast:12 row_mask:0xf bank_mask:0xf// 000000007110: 0AA040FA FF015C9D
	v_mul_f32_dpp v81, v157, v33 row_newbcast:13 row_mask:0xf bank_mask:0xf// 000000007118: 0AA242FA FF015D9D
	v_mul_f32_dpp v82, v157, v34 row_newbcast:14 row_mask:0xf bank_mask:0xf// 000000007120: 0AA444FA FF015E9D
	v_mul_f32_dpp v83, v157, v35 row_newbcast:15 row_mask:0xf bank_mask:0xf// 000000007128: 0AA646FA FF015F9D
	v_mul_f32_dpp v84, v157, v36 row_newbcast:0 row_mask:0xf bank_mask:0xf// 000000007130: 0AA848FA FF01509D
	v_mul_f32_dpp v85, v157, v37 row_newbcast:1 row_mask:0xf bank_mask:0xf// 000000007138: 0AAA4AFA FF01519D
	v_mul_f32_dpp v86, v157, v38 row_newbcast:2 row_mask:0xf bank_mask:0xf// 000000007140: 0AAC4CFA FF01529D
	v_mul_f32_dpp v87, v157, v39 row_newbcast:3 row_mask:0xf bank_mask:0xf// 000000007148: 0AAE4EFA FF01539D
	v_mul_f32_dpp v88, v157, v40 row_newbcast:4 row_mask:0xf bank_mask:0xf// 000000007150: 0AB050FA FF01549D
	v_mul_f32_dpp v89, v157, v41 row_newbcast:5 row_mask:0xf bank_mask:0xf// 000000007158: 0AB252FA FF01559D
	v_mul_f32_dpp v90, v157, v42 row_newbcast:6 row_mask:0xf bank_mask:0xf// 000000007160: 0AB454FA FF01569D
	v_mul_f32_dpp v91, v157, v43 row_newbcast:7 row_mask:0xf bank_mask:0xf// 000000007168: 0AB656FA FF01579D
	v_mul_f32_dpp v92, v157, v44 row_newbcast:8 row_mask:0xf bank_mask:0xf// 000000007170: 0AB858FA FF01589D
	v_mul_f32_dpp v93, v157, v45 row_newbcast:9 row_mask:0xf bank_mask:0xf// 000000007178: 0ABA5AFA FF01599D
	v_mul_f32_dpp v94, v157, v46 row_newbcast:10 row_mask:0xf bank_mask:0xf// 000000007180: 0ABC5CFA FF015A9D
	v_mul_f32_dpp v95, v157, v47 row_newbcast:11 row_mask:0xf bank_mask:0xf// 000000007188: 0ABE5EFA FF015B9D
	v_mul_f32_dpp v96, v157, v48 row_newbcast:12 row_mask:0xf bank_mask:0xf// 000000007190: 0AC060FA FF015C9D
	v_mul_f32_dpp v97, v157, v49 row_newbcast:13 row_mask:0xf bank_mask:0xf// 000000007198: 0AC262FA FF015D9D
	v_mul_f32_dpp v98, v157, v50 row_newbcast:14 row_mask:0xf bank_mask:0xf// 0000000071A0: 0AC464FA FF015E9D
	v_mul_f32_dpp v99, v157, v51 row_newbcast:15 row_mask:0xf bank_mask:0xf// 0000000071A8: 0AC666FA FF015F9D
	buffer_load_dword v154, v235, s[20:23], 0 offen            // 0000000071B0: E0501000 80059AEB
	v_sub_f32_e32 v170, v164, v167                             // 0000000071B8: 05554FA4
	v_cmp_eq_u32_e64 s[98:99], v222, v164                      // 0000000071BC: D0CA0062 000349DE
	v_cndmask_b32_e64 v170, v170, 0, s[98:99]                  // 0000000071C4: D10000AA 018901AA
	v_mov_b32_e32 v164, v167                                   // 0000000071CC: 7F4803A7
	v_mul_f32_e32 v170, s46, v170                              // 0000000071D0: 0B55542E
	v_exp_f32_e32 v170, v170                                   // 0000000071D4: 7F5441AA
	v_sub_f32_e32 v172, v165, v168                             // 0000000071D8: 055951A5
	v_cmp_eq_u32_e64 s[98:99], v222, v165                      // 0000000071DC: D0CA0062 00034BDE
	v_cndmask_b32_e64 v172, v172, 0, s[98:99]                  // 0000000071E4: D10000AC 018901AC
	v_mov_b32_e32 v165, v168                                   // 0000000071EC: 7F4A03A8
	v_mul_f32_e32 v172, s46, v172                              // 0000000071F0: 0B59582E
	v_exp_f32_e32 v172, v172                                   // 0000000071F4: 7F5841AC
	v_sub_f32_e32 v174, v166, v169                             // 0000000071F8: 055D53A6
	v_cmp_eq_u32_e64 s[98:99], v222, v166                      // 0000000071FC: D0CA0062 00034DDE
	v_cndmask_b32_e64 v174, v174, 0, s[98:99]                  // 000000007204: D10000AE 018901AE
	v_mov_b32_e32 v166, v169                                   // 00000000720C: 7F4C03A9
	v_mul_f32_e32 v174, s46, v174                              // 000000007210: 0B5D5C2E
	v_exp_f32_e32 v174, v174                                   // 000000007214: 7F5C41AE
	v_mov_b32_e32 v171, v170                                   // 000000007218: 7F5603AA
	v_mov_b32_e32 v173, v172                                   // 00000000721C: 7F5A03AC
	v_mov_b32_e32 v175, v174                                   // 000000007220: 7F5E03AE
	s_waitcnt lgkmcnt(0)                                       // 000000007224: BF8CC07F
	s_barrier                                                  // 000000007228: BF8A0000
	buffer_load_dword v156, v236, s[24:27], 0 offen            // 00000000722C: E0501000 80069CEC
	v_mul_f32_e32 v176, v170, v176                             // 000000007234: 0B6161AA
	v_mov_b32_e32 v177, 0                                      // 000000007238: 7F620280
	v_pk_add_f32 v[176:177], v[4:5], v[176:177]                // 00000000723C: D3B240B0 18036104
	v_pk_add_f32 v[176:177], v[6:7], v[176:177]                // 000000007244: D3B240B0 18036106
	v_pk_add_f32 v[176:177], v[8:9], v[176:177]                // 00000000724C: D3B240B0 18036108
	v_pk_add_f32 v[176:177], v[10:11], v[176:177]              // 000000007254: D3B240B0 1803610A
	v_pk_add_f32 v[176:177], v[12:13], v[176:177]              // 00000000725C: D3B240B0 1803610C
	v_pk_add_f32 v[176:177], v[14:15], v[176:177]              // 000000007264: D3B240B0 1803610E
	v_pk_add_f32 v[176:177], v[16:17], v[176:177]              // 00000000726C: D3B240B0 18036110
	v_pk_add_f32 v[176:177], v[18:19], v[176:177]              // 000000007274: D3B240B0 18036112
	v_add_f32_e32 v176, v177, v176                             // 00000000727C: 036161B1
	v_mul_f32_e32 v178, v172, v178                             // 000000007280: 0B6565AC
	v_mov_b32_e32 v179, 0                                      // 000000007284: 7F660280
	v_pk_add_f32 v[178:179], v[20:21], v[178:179]              // 000000007288: D3B240B2 18036514
	v_pk_add_f32 v[178:179], v[22:23], v[178:179]              // 000000007290: D3B240B2 18036516
	;; [unrolled: 1-line block ×3, first 2 shown]
	v_pk_add_f32 v[178:179], v[26:27], v[178:179]              // 0000000072A0: D3B240B2 1803651A
	v_pk_add_f32 v[178:179], v[28:29], v[178:179]              // 0000000072A8: D3B240B2 1803651C
	v_pk_add_f32 v[178:179], v[30:31], v[178:179]              // 0000000072B0: D3B240B2 1803651E
	v_pk_add_f32 v[178:179], v[32:33], v[178:179]              // 0000000072B8: D3B240B2 18036520
	v_pk_add_f32 v[178:179], v[34:35], v[178:179]              // 0000000072C0: D3B240B2 18036522
	v_add_f32_e32 v178, v179, v178                             // 0000000072C8: 036565B3
	v_mul_f32_e32 v180, v174, v180                             // 0000000072CC: 0B6969AE
	v_mov_b32_e32 v181, 0                                      // 0000000072D0: 7F6A0280
	v_pk_add_f32 v[180:181], v[36:37], v[180:181]              // 0000000072D4: D3B240B4 18036924
	v_pk_add_f32 v[180:181], v[38:39], v[180:181]              // 0000000072DC: D3B240B4 18036926
	v_pk_add_f32 v[180:181], v[40:41], v[180:181]              // 0000000072E4: D3B240B4 18036928
	v_pk_add_f32 v[180:181], v[42:43], v[180:181]              // 0000000072EC: D3B240B4 1803692A
	v_pk_add_f32 v[180:181], v[44:45], v[180:181]              // 0000000072F4: D3B240B4 1803692C
	v_pk_add_f32 v[180:181], v[46:47], v[180:181]              // 0000000072FC: D3B240B4 1803692E
	v_pk_add_f32 v[180:181], v[48:49], v[180:181]              // 000000007304: D3B240B4 18036930
	v_pk_add_f32 v[180:181], v[50:51], v[180:181]              // 00000000730C: D3B240B4 18036932
	v_add_f32_e32 v180, v181, v180                             // 000000007314: 036969B5
	s_waitcnt lgkmcnt(0)                                       // 000000007318: BF8CC07F
	v_sub_f32_e32 v182, v182, v164                             // 00000000731C: 056D49B6
	v_sub_f32_e32 v183, v183, v165                             // 000000007320: 056F4BB7
	v_sub_f32_e32 v184, v184, v166                             // 000000007324: 05714DB8
	v_mul_f32_e32 v182, s46, v182                              // 000000007328: 0B6D6C2E
	v_mul_f32_e32 v183, s46, v183                              // 00000000732C: 0B6F6E2E
	v_mul_f32_e32 v184, s46, v184                              // 000000007330: 0B71702E
	v_exp_f32_e32 v182, v182                                   // 000000007334: 7F6C41B6
	v_exp_f32_e32 v183, v183                                   // 000000007338: 7F6E41B7
	v_exp_f32_e32 v184, v184                                   // 00000000733C: 7F7041B8
	v_mul_f32_e32 v182, v157, v182                             // 000000007340: 0B6D6D9D
	v_mul_f32_e32 v183, v157, v183                             // 000000007344: 0B6F6F9D
	v_mul_f32_e32 v184, v157, v184                             // 000000007348: 0B71719D
	v_add_f32_e32 v182, 0x3089705f, v182                       // 00000000734C: 036D6CFF 3089705F
	v_add_f32_e32 v183, 0x3089705f, v183                       // 000000007354: 036F6EFF 3089705F
	v_add_f32_e32 v184, 0x3089705f, v184                       // 00000000735C: 037170FF 3089705F
	v_rcp_f32_e32 v182, v182                                   // 000000007364: 7F6C45B6
	v_rcp_f32_e32 v183, v183                                   // 000000007368: 7F6E45B7
	v_rcp_f32_e32 v184, v184                                   // 00000000736C: 7F7045B8
	v_mul_f32_e32 v182, 0x43700000, v182                       // 000000007370: 0B6D6CFF 43700000
	v_mul_f32_e32 v183, 0x43700000, v183                       // 000000007378: 0B6F6EFF 43700000
	v_mul_f32_e32 v184, 0x43700000, v184                       // 000000007380: 0B7170FF 43700000
	v_mov_b32_e32 v186, v184                                   // 000000007388: 7F7403B8
	v_mov_b32_e32 v187, v184                                   // 00000000738C: 7F7603B8
	v_mov_b32_e32 v184, v183                                   // 000000007390: 7F7003B7
	v_mov_b32_e32 v185, v183                                   // 000000007394: 7F7203B7
	v_mov_b32_e32 v183, v182                                   // 000000007398: 7F6E03B6
	v_pk_mul_f32 v[4:5], v[182:183], v[52:53]                  // 00000000739C: D3B14004 180269B6
	v_pk_mul_f32 v[6:7], v[182:183], v[54:55]                  // 0000000073A4: D3B14006 18026DB6
	v_pk_mul_f32 v[8:9], v[182:183], v[56:57]                  // 0000000073AC: D3B14008 180271B6
	v_pk_mul_f32 v[10:11], v[182:183], v[58:59]                // 0000000073B4: D3B1400A 180275B6
	v_pk_mul_f32 v[12:13], v[182:183], v[60:61]                // 0000000073BC: D3B1400C 180279B6
	v_pk_mul_f32 v[14:15], v[182:183], v[62:63]                // 0000000073C4: D3B1400E 18027DB6
	v_pk_mul_f32 v[16:17], v[182:183], v[64:65]                // 0000000073CC: D3B14010 180281B6
	v_pk_mul_f32 v[18:19], v[182:183], v[66:67]                // 0000000073D4: D3B14012 180285B6
	v_pk_mul_f32 v[20:21], v[184:185], v[68:69]                // 0000000073DC: D3B14014 180289B8
	v_pk_mul_f32 v[22:23], v[184:185], v[70:71]                // 0000000073E4: D3B14016 18028DB8
	v_pk_mul_f32 v[24:25], v[184:185], v[72:73]                // 0000000073EC: D3B14018 180291B8
	v_pk_mul_f32 v[26:27], v[184:185], v[74:75]                // 0000000073F4: D3B1401A 180295B8
	v_pk_mul_f32 v[28:29], v[184:185], v[76:77]                // 0000000073FC: D3B1401C 180299B8
	v_pk_mul_f32 v[30:31], v[184:185], v[78:79]                // 000000007404: D3B1401E 18029DB8
	v_pk_mul_f32 v[32:33], v[184:185], v[80:81]                // 00000000740C: D3B14020 1802A1B8
	v_pk_mul_f32 v[34:35], v[184:185], v[82:83]                // 000000007414: D3B14022 1802A5B8
	v_pk_mul_f32 v[36:37], v[186:187], v[84:85]                // 00000000741C: D3B14024 1802A9BA
	v_pk_mul_f32 v[38:39], v[186:187], v[86:87]                // 000000007424: D3B14026 1802ADBA
	v_pk_mul_f32 v[40:41], v[186:187], v[88:89]                // 00000000742C: D3B14028 1802B1BA
	v_pk_mul_f32 v[42:43], v[186:187], v[90:91]                // 000000007434: D3B1402A 1802B5BA
	v_pk_mul_f32 v[44:45], v[186:187], v[92:93]                // 00000000743C: D3B1402C 1802B9BA
	v_pk_mul_f32 v[46:47], v[186:187], v[94:95]                // 000000007444: D3B1402E 1802BDBA
	v_pk_mul_f32 v[48:49], v[186:187], v[96:97]                // 00000000744C: D3B14030 1802C1BA
	v_pk_mul_f32 v[50:51], v[186:187], v[98:99]                // 000000007454: D3B14032 1802C5BA
	v_cvt_pk_fp8_f32 v4, v4, v5                                // 00000000745C: D2A20004 00020B04
	v_cvt_pk_fp8_f32 v4, v6, v7 op_sel:[0,0,1]                 // 000000007464: D2A24004 00020F06
	v_cvt_pk_fp8_f32 v5, v8, v9                                // 00000000746C: D2A20005 00021308
	v_cvt_pk_fp8_f32 v5, v10, v11 op_sel:[0,0,1]               // 000000007474: D2A24005 0002170A
	v_cvt_pk_fp8_f32 v6, v12, v13                              // 00000000747C: D2A20006 00021B0C
	v_cvt_pk_fp8_f32 v6, v14, v15 op_sel:[0,0,1]               // 000000007484: D2A24006 00021F0E
	v_cvt_pk_fp8_f32 v7, v16, v17                              // 00000000748C: D2A20007 00022310
	v_cvt_pk_fp8_f32 v7, v18, v19 op_sel:[0,0,1]               // 000000007494: D2A24007 00022712
	v_cvt_pk_fp8_f32 v8, v20, v21                              // 00000000749C: D2A20008 00022B14
	v_cvt_pk_fp8_f32 v8, v22, v23 op_sel:[0,0,1]               // 0000000074A4: D2A24008 00022F16
	v_cvt_pk_fp8_f32 v9, v24, v25                              // 0000000074AC: D2A20009 00023318
	v_cvt_pk_fp8_f32 v9, v26, v27 op_sel:[0,0,1]               // 0000000074B4: D2A24009 0002371A
	v_cvt_pk_fp8_f32 v10, v28, v29                             // 0000000074BC: D2A2000A 00023B1C
	v_cvt_pk_fp8_f32 v10, v30, v31 op_sel:[0,0,1]              // 0000000074C4: D2A2400A 00023F1E
	v_cvt_pk_fp8_f32 v11, v32, v33                             // 0000000074CC: D2A2000B 00024320
	v_cvt_pk_fp8_f32 v11, v34, v35 op_sel:[0,0,1]              // 0000000074D4: D2A2400B 00024722
	v_cvt_pk_fp8_f32 v12, v36, v37                             // 0000000074DC: D2A2000C 00024B24
	v_cvt_pk_fp8_f32 v12, v38, v39 op_sel:[0,0,1]              // 0000000074E4: D2A2400C 00024F26
	v_cvt_pk_fp8_f32 v13, v40, v41                             // 0000000074EC: D2A2000D 00025328
	v_cvt_pk_fp8_f32 v13, v42, v43 op_sel:[0,0,1]              // 0000000074F4: D2A2400D 0002572A
	v_cvt_pk_fp8_f32 v14, v44, v45                             // 0000000074FC: D2A2000E 00025B2C
	v_cvt_pk_fp8_f32 v14, v46, v47 op_sel:[0,0,1]              // 000000007504: D2A2400E 00025F2E
	v_cvt_pk_fp8_f32 v15, v48, v49                             // 00000000750C: D2A2000F 00026330
	v_cvt_pk_fp8_f32 v15, v50, v51 op_sel:[0,0,1]              // 000000007514: D2A2400F 00026732
	ds_write_b32 v251, v4 offset:8192                          // 00000000751C: D81A2000 000004FB
	ds_write_b32 v251, v5 offset:9216                          // 000000007524: D81A2400 000005FB
	ds_write_b32 v251, v6 offset:10240                         // 00000000752C: D81A2800 000006FB
	ds_write_b32 v251, v7 offset:11264                         // 000000007534: D81A2C00 000007FB
	ds_write_b32 v251, v8 offset:12288                         // 00000000753C: D81A3000 000008FB
	ds_write_b32 v251, v9 offset:13312                         // 000000007544: D81A3400 000009FB
	ds_write_b32 v251, v10 offset:14336                        // 00000000754C: D81A3800 00000AFB
	ds_write_b32 v251, v11 offset:15360                        // 000000007554: D81A3C00 00000BFB
	ds_write_b32 v251, v12 offset:16384                        // 00000000755C: D81A4000 00000CFB
	ds_write_b32 v251, v13 offset:17408                        // 000000007564: D81A4400 00000DFB
	ds_write_b32 v251, v14 offset:18432                        // 00000000756C: D81A4800 00000EFB
	ds_write_b32 v251, v15 offset:19456                        // 000000007574: D81A4C00 00000FFB
	v_rcp_f32_e32 v158, v182                                   // 00000000757C: 7F3C45B6
	v_rcp_f32_e32 v160, v184                                   // 000000007580: 7F4045B8
	v_rcp_f32_e32 v162, v186                                   // 000000007584: 7F4445BA
	v_mov_b32_e32 v159, v158                                   // 000000007588: 7F3E039E
	v_mov_b32_e32 v161, v160                                   // 00000000758C: 7F4203A0
	v_mov_b32_e32 v163, v162                                   // 000000007590: 7F4603A2
	v_pk_add_f32 v[124:125], v[124:125], v[100:101]            // 000000007594: D3B2407C 1802C97C
	v_pk_add_f32 v[126:127], v[126:127], v[102:103]            // 00000000759C: D3B2407E 1802CD7E
	v_pk_add_f32 v[128:129], v[128:129], v[104:105]            // 0000000075A4: D3B24080 1802D180
	v_pk_add_f32 v[130:131], v[130:131], v[106:107]            // 0000000075AC: D3B24082 1802D582
	v_pk_add_f32 v[132:133], v[132:133], v[108:109]            // 0000000075B4: D3B24084 1802D984
	v_pk_add_f32 v[134:135], v[134:135], v[110:111]            // 0000000075BC: D3B24086 1802DD86
	v_pk_add_f32 v[136:137], v[136:137], v[112:113]            // 0000000075C4: D3B24088 1802E188
	v_pk_add_f32 v[138:139], v[138:139], v[114:115]            // 0000000075CC: D3B2408A 1802E58A
	v_pk_add_f32 v[140:141], v[140:141], v[116:117]            // 0000000075D4: D3B2408C 1802E98C
	v_pk_add_f32 v[142:143], v[142:143], v[118:119]            // 0000000075DC: D3B2408E 1802ED8E
	v_pk_add_f32 v[144:145], v[144:145], v[120:121]            // 0000000075E4: D3B24090 1802F190
	v_pk_add_f32 v[146:147], v[146:147], v[122:123]            // 0000000075EC: D3B24092 1802F592
	s_waitcnt lgkmcnt(0)                                       // 0000000075F4: BF8CC07F
	s_barrier                                                  // 0000000075F8: BF8A0000
	ds_read_b128 v[4:7], v252 offset:8192                      // 0000000075FC: D9FE2000 040000FC
	ds_read_b128 v[8:11], v252 offset:9216                     // 000000007604: D9FE2400 080000FC
	ds_read_b128 v[12:15], v252 offset:10240                   // 00000000760C: D9FE2800 0C0000FC
	ds_read_b128 v[16:19], v252 offset:11264                   // 000000007614: D9FE2C00 100000FC
	ds_read_b128 v[20:23], v252 offset:12288                   // 00000000761C: D9FE3000 140000FC
	ds_read_b128 v[24:27], v252 offset:13312                   // 000000007624: D9FE3400 180000FC
	ds_read_b128 v[28:31], v252 offset:14336                   // 00000000762C: D9FE3800 1C0000FC
	ds_read_b128 v[32:35], v252 offset:15360                   // 000000007634: D9FE3C00 200000FC
	ds_read_b128 v[36:39], v252 offset:16384                   // 00000000763C: D9FE4000 240000FC
	ds_read_b128 v[40:43], v252 offset:17408                   // 000000007644: D9FE4400 280000FC
	ds_read_b128 v[44:47], v252 offset:18432                   // 00000000764C: D9FE4800 2C0000FC
	ds_read_b128 v[48:51], v252 offset:19456                   // 000000007654: D9FE4C00 300000FC
	s_waitcnt vmcnt(10)                                        // 00000000765C: BF8C0F7A
	s_waitcnt lgkmcnt(11)                                      // 000000007660: BF8CCB7F
	v_mfma_f32_16x16x32_fp8_fp8 v[100:103], a[120:121], v[4:5], 0// 000000007664: D3F30064 0A020978
	v_mfma_f32_16x16x32_fp8_fp8 v[104:107], a[136:137], v[4:5], 0// 00000000766C: D3F30068 0A020988
	v_mfma_f32_16x16x32_fp8_fp8 v[100:103], a[122:123], v[6:7], v[100:103]// 000000007674: D3F30064 0D920D7A
	buffer_load_dwordx4 a[88:91], v231, s[16:19], 0 offen      // 00000000767C: E05C1000 808458E7
	v_mfma_f32_16x16x32_fp8_fp8 v[104:107], a[138:139], v[6:7], v[104:107]// 000000007684: D3F30068 0DA20D8A
	s_waitcnt lgkmcnt(10)                                      // 00000000768C: BF8CCA7F
	v_mfma_f32_16x16x32_fp8_fp8 v[100:103], a[124:125], v[8:9], v[100:103]// 000000007690: D3F30064 0D92117C
	v_mfma_f32_16x16x32_fp8_fp8 v[104:107], a[140:141], v[8:9], v[104:107]// 000000007698: D3F30068 0DA2118C
	v_mfma_f32_16x16x32_fp8_fp8 v[100:103], a[126:127], v[10:11], v[100:103]// 0000000076A0: D3F30064 0D92157E
	buffer_load_dwordx4 a[92:95], v232, s[16:19], 0 offen      // 0000000076A8: E05C1000 80845CE8
	v_mfma_f32_16x16x32_fp8_fp8 v[104:107], a[142:143], v[10:11], v[104:107]// 0000000076B0: D3F30068 0DA2158E
	s_waitcnt lgkmcnt(9)                                       // 0000000076B8: BF8CC97F
	v_mfma_f32_16x16x32_fp8_fp8 v[100:103], a[128:129], v[12:13], v[100:103]// 0000000076BC: D3F30064 0D921980
	v_mfma_f32_16x16x32_fp8_fp8 v[104:107], a[144:145], v[12:13], v[104:107]// 0000000076C4: D3F30068 0DA21990
	v_mfma_f32_16x16x32_fp8_fp8 v[100:103], a[130:131], v[14:15], v[100:103]// 0000000076CC: D3F30064 0D921D82
	buffer_load_dwordx4 a[96:99], v233, s[16:19], 0 offen      // 0000000076D4: E05C1000 808460E9
	v_mfma_f32_16x16x32_fp8_fp8 v[104:107], a[146:147], v[14:15], v[104:107]// 0000000076DC: D3F30068 0DA21D92
	s_waitcnt lgkmcnt(8)                                       // 0000000076E4: BF8CC87F
	v_mfma_f32_16x16x32_fp8_fp8 v[100:103], a[132:133], v[16:17], v[100:103]// 0000000076E8: D3F30064 0D922184
	v_mfma_f32_16x16x32_fp8_fp8 v[104:107], a[148:149], v[16:17], v[104:107]// 0000000076F0: D3F30068 0DA22194
	v_mfma_f32_16x16x32_fp8_fp8 v[100:103], a[134:135], v[18:19], v[100:103]// 0000000076F8: D3F30064 0D922586
	buffer_load_dwordx4 a[100:103], v234, s[16:19], 0 offen    // 000000007700: E05C1000 808464EA
	v_mfma_f32_16x16x32_fp8_fp8 v[104:107], a[150:151], v[18:19], v[104:107]// 000000007708: D3F30068 0DA22596
	s_waitcnt lgkmcnt(7)                                       // 000000007710: BF8CC77F
	v_mfma_f32_16x16x32_fp8_fp8 v[108:111], a[120:121], v[20:21], 0// 000000007714: D3F3006C 0A022978
	v_mfma_f32_16x16x32_fp8_fp8 v[112:115], a[136:137], v[20:21], 0// 00000000771C: D3F30070 0A022988
	v_mfma_f32_16x16x32_fp8_fp8 v[108:111], a[122:123], v[22:23], v[108:111]// 000000007724: D3F3006C 0DB22D7A
	buffer_load_dwordx4 a[104:107], v231, s[16:19], 0 offen offset:1024// 00000000772C: E05C1400 808468E7
	v_mfma_f32_16x16x32_fp8_fp8 v[112:115], a[138:139], v[22:23], v[112:115]// 000000007734: D3F30070 0DC22D8A
	s_waitcnt lgkmcnt(6)                                       // 00000000773C: BF8CC67F
	v_mfma_f32_16x16x32_fp8_fp8 v[108:111], a[124:125], v[24:25], v[108:111]// 000000007740: D3F3006C 0DB2317C
	v_mfma_f32_16x16x32_fp8_fp8 v[112:115], a[140:141], v[24:25], v[112:115]// 000000007748: D3F30070 0DC2318C
	v_mfma_f32_16x16x32_fp8_fp8 v[108:111], a[126:127], v[26:27], v[108:111]// 000000007750: D3F3006C 0DB2357E
	buffer_load_dwordx4 a[108:111], v232, s[16:19], 0 offen offset:1024// 000000007758: E05C1400 80846CE8
	v_mfma_f32_16x16x32_fp8_fp8 v[112:115], a[142:143], v[26:27], v[112:115]// 000000007760: D3F30070 0DC2358E
	s_waitcnt lgkmcnt(5)                                       // 000000007768: BF8CC57F
	v_mfma_f32_16x16x32_fp8_fp8 v[108:111], a[128:129], v[28:29], v[108:111]// 00000000776C: D3F3006C 0DB23980
	v_mfma_f32_16x16x32_fp8_fp8 v[112:115], a[144:145], v[28:29], v[112:115]// 000000007774: D3F30070 0DC23990
	v_mfma_f32_16x16x32_fp8_fp8 v[108:111], a[130:131], v[30:31], v[108:111]// 00000000777C: D3F3006C 0DB23D82
	buffer_load_dwordx4 a[112:115], v233, s[16:19], 0 offen offset:1024// 000000007784: E05C1400 808470E9
	v_mfma_f32_16x16x32_fp8_fp8 v[112:115], a[146:147], v[30:31], v[112:115]// 00000000778C: D3F30070 0DC23D92
	s_waitcnt lgkmcnt(4)                                       // 000000007794: BF8CC47F
	v_mfma_f32_16x16x32_fp8_fp8 v[108:111], a[132:133], v[32:33], v[108:111]// 000000007798: D3F3006C 0DB24184
	v_mfma_f32_16x16x32_fp8_fp8 v[112:115], a[148:149], v[32:33], v[112:115]// 0000000077A0: D3F30070 0DC24194
	v_mfma_f32_16x16x32_fp8_fp8 v[108:111], a[134:135], v[34:35], v[108:111]// 0000000077A8: D3F3006C 0DB24586
	buffer_load_dwordx4 a[116:119], v234, s[16:19], 0 offen offset:1024// 0000000077B0: E05C1400 808474EA
	v_mfma_f32_16x16x32_fp8_fp8 v[112:115], a[150:151], v[34:35], v[112:115]// 0000000077B8: D3F30070 0DC24596
	s_waitcnt lgkmcnt(3)                                       // 0000000077C0: BF8CC37F
	v_mfma_f32_16x16x32_fp8_fp8 v[116:119], a[120:121], v[36:37], 0// 0000000077C4: D3F30074 0A024978
	v_mfma_f32_16x16x32_fp8_fp8 v[120:123], a[136:137], v[36:37], 0// 0000000077CC: D3F30078 0A024988
	v_mfma_f32_16x16x32_fp8_fp8 v[116:119], a[122:123], v[38:39], v[116:119]// 0000000077D4: D3F30074 0DD24D7A
	v_mfma_f32_16x16x32_fp8_fp8 v[120:123], a[138:139], v[38:39], v[120:123]// 0000000077DC: D3F30078 0DE24D8A
	s_waitcnt lgkmcnt(2)                                       // 0000000077E4: BF8CC27F
	v_mfma_f32_16x16x32_fp8_fp8 v[116:119], a[124:125], v[40:41], v[116:119]// 0000000077E8: D3F30074 0DD2517C
	v_mfma_f32_16x16x32_fp8_fp8 v[120:123], a[140:141], v[40:41], v[120:123]// 0000000077F0: D3F30078 0DE2518C
	v_mfma_f32_16x16x32_fp8_fp8 v[116:119], a[126:127], v[42:43], v[116:119]// 0000000077F8: D3F30074 0DD2557E
	v_mfma_f32_16x16x32_fp8_fp8 v[120:123], a[142:143], v[42:43], v[120:123]// 000000007800: D3F30078 0DE2558E
	s_waitcnt lgkmcnt(1)                                       // 000000007808: BF8CC17F
	v_mfma_f32_16x16x32_fp8_fp8 v[116:119], a[128:129], v[44:45], v[116:119]// 00000000780C: D3F30074 0DD25980
	v_mfma_f32_16x16x32_fp8_fp8 v[120:123], a[144:145], v[44:45], v[120:123]// 000000007814: D3F30078 0DE25990
	v_mfma_f32_16x16x32_fp8_fp8 v[116:119], a[130:131], v[46:47], v[116:119]// 00000000781C: D3F30074 0DD25D82
	v_mfma_f32_16x16x32_fp8_fp8 v[120:123], a[146:147], v[46:47], v[120:123]// 000000007824: D3F30078 0DE25D92
	s_waitcnt lgkmcnt(0)                                       // 00000000782C: BF8CC07F
	v_mfma_f32_16x16x32_fp8_fp8 v[116:119], a[132:133], v[48:49], v[116:119]// 000000007830: D3F30074 0DD26184
	v_mfma_f32_16x16x32_fp8_fp8 v[120:123], a[148:149], v[48:49], v[120:123]// 000000007838: D3F30078 0DE26194
	v_mfma_f32_16x16x32_fp8_fp8 v[116:119], a[134:135], v[50:51], v[116:119]// 000000007840: D3F30074 0DD26586
	v_mfma_f32_16x16x32_fp8_fp8 v[120:123], a[150:151], v[50:51], v[120:123]// 000000007848: D3F30078 0DE26596
	s_addk_i32 s64, 0x100                                      // 000000007850: B7400100
	s_branch label_0410                                        // 000000007854: BF82EF7A

0000000000007858 <label_1496>:
	s_cmp_lt_i32 s64, s63                                      // 000000007858: BF043F40
	s_cbranch_scc0 label_251C                                  // 00000000785C: BF841084
	s_waitcnt vmcnt(10)                                        // 000000007860: BF8C0F7A
	v_mfma_f32_16x16x32_fp8_fp8 v[4:7], a[24:25], a[0:1], 0    // 000000007864: D3F30004 1A020118
	s_add_u32 s12, s86, s69                                    // 00000000786C: 800C4556
	s_addc_u32 s13, s87, 0                                     // 000000007870: 820D8057
	v_mfma_f32_16x16x32_fp8_fp8 v[4:7], a[26:27], a[2:3], v[4:7]// 000000007874: D3F30004 1C12051A
	s_add_u32 s16, s88, s70                                    // 00000000787C: 80104658
	s_addc_u32 s17, s89, 0                                     // 000000007880: 82118059
	v_mfma_f32_16x16x32_fp8_fp8 v[4:7], a[28:29], a[4:5], v[4:7]// 000000007884: D3F30004 1C12091C
	buffer_load_dwordx4 a[56:59], v229, s[12:15], 0 offen      // 00000000788C: E05C1000 808338E5
	v_mfma_f32_16x16x32_fp8_fp8 v[4:7], a[30:31], a[6:7], v[4:7]// 000000007894: D3F30004 1C120D1E
	s_add_u32 s20, s90, s71                                    // 00000000789C: 8014475A
	s_addc_u32 s21, s91, 0                                     // 0000000078A0: 8215805B
	v_mfma_f32_16x16x32_fp8_fp8 v[8:11], a[32:33], a[0:1], 0   // 0000000078A4: D3F30008 1A020120
	s_add_u32 s24, s92, s71                                    // 0000000078AC: 8018475C
	s_addc_u32 s25, s93, 0                                     // 0000000078B0: 8219805D
	v_mfma_f32_16x16x32_fp8_fp8 v[8:11], a[34:35], a[2:3], v[8:11]// 0000000078B4: D3F30008 1C220522
	s_add_u32 s69, s69, 0x1000                                 // 0000000078BC: 8045FF45 00001000
	s_add_u32 s70, s70, 0x8000                                 // 0000000078C4: 8046FF46 00008000
	v_mfma_f32_16x16x32_fp8_fp8 v[8:11], a[36:37], a[4:5], v[8:11]// 0000000078CC: D3F30008 1C220924
	buffer_load_dwordx4 a[60:63], v230, s[12:15], 0 offen      // 0000000078D4: E05C1000 80833CE6
	v_mfma_f32_16x16x32_fp8_fp8 v[8:11], a[38:39], a[6:7], v[8:11]// 0000000078DC: D3F30008 1C220D26
	v_mfma_f32_16x16x32_fp8_fp8 v[12:15], a[40:41], a[0:1], 0  // 0000000078E4: D3F3000C 1A020128
	v_mfma_f32_16x16x32_fp8_fp8 v[12:15], a[42:43], a[2:3], v[12:15]// 0000000078EC: D3F3000C 1C32052A
	v_mfma_f32_16x16x32_fp8_fp8 v[12:15], a[44:45], a[4:5], v[12:15]// 0000000078F4: D3F3000C 1C32092C
	buffer_load_dwordx4 a[64:67], v229, s[12:15], 0 offen offset:1024// 0000000078FC: E05C1400 808340E5
	v_mfma_f32_16x16x32_fp8_fp8 v[12:15], a[46:47], a[6:7], v[12:15]// 000000007904: D3F3000C 1C320D2E
	v_mfma_f32_16x16x32_fp8_fp8 v[16:19], a[48:49], a[0:1], 0  // 00000000790C: D3F30010 1A020130
	v_mfma_f32_16x16x32_fp8_fp8 v[16:19], a[50:51], a[2:3], v[16:19]// 000000007914: D3F30010 1C420532
	v_mfma_f32_16x16x32_fp8_fp8 v[16:19], a[52:53], a[4:5], v[16:19]// 00000000791C: D3F30010 1C420934
	buffer_load_dwordx4 a[68:71], v230, s[12:15], 0 offen offset:1024// 000000007924: E05C1400 808344E6
	v_mfma_f32_16x16x32_fp8_fp8 v[16:19], a[54:55], a[6:7], v[16:19]// 00000000792C: D3F30010 1C420D36
	v_mfma_f32_16x16x32_fp8_fp8 v[20:23], a[24:25], a[8:9], 0  // 000000007934: D3F30014 1A021118
	v_mfma_f32_16x16x32_fp8_fp8 v[20:23], a[26:27], a[10:11], v[20:23]// 00000000793C: D3F30014 1C52151A
	v_mfma_f32_16x16x32_fp8_fp8 v[20:23], a[28:29], a[12:13], v[20:23]// 000000007944: D3F30014 1C52191C
	buffer_load_dwordx4 a[72:75], v229, s[12:15], 0 offen offset:2048// 00000000794C: E05C1800 808348E5
	v_mfma_f32_16x16x32_fp8_fp8 v[20:23], a[30:31], a[14:15], v[20:23]// 000000007954: D3F30014 1C521D1E
	v_mfma_f32_16x16x32_fp8_fp8 v[24:27], a[32:33], a[8:9], 0  // 00000000795C: D3F30018 1A021120
	v_mfma_f32_16x16x32_fp8_fp8 v[24:27], a[34:35], a[10:11], v[24:27]// 000000007964: D3F30018 1C621522
	v_mfma_f32_16x16x32_fp8_fp8 v[24:27], a[36:37], a[12:13], v[24:27]// 00000000796C: D3F30018 1C621924
	buffer_load_dwordx4 a[76:79], v230, s[12:15], 0 offen offset:2048// 000000007974: E05C1800 80834CE6
	v_mfma_f32_16x16x32_fp8_fp8 v[24:27], a[38:39], a[14:15], v[24:27]// 00000000797C: D3F30018 1C621D26
	v_mfma_f32_16x16x32_fp8_fp8 v[28:31], a[40:41], a[8:9], 0  // 000000007984: D3F3001C 1A021128
	v_mfma_f32_16x16x32_fp8_fp8 v[28:31], a[42:43], a[10:11], v[28:31]// 00000000798C: D3F3001C 1C72152A
	v_mfma_f32_16x16x32_fp8_fp8 v[28:31], a[44:45], a[12:13], v[28:31]// 000000007994: D3F3001C 1C72192C
	buffer_load_dwordx4 a[80:83], v229, s[12:15], 0 offen offset:3072// 00000000799C: E05C1C00 808350E5
	v_mfma_f32_16x16x32_fp8_fp8 v[28:31], a[46:47], a[14:15], v[28:31]// 0000000079A4: D3F3001C 1C721D2E
	v_mfma_f32_16x16x32_fp8_fp8 v[32:35], a[48:49], a[8:9], 0  // 0000000079AC: D3F30020 1A021130
	v_mfma_f32_16x16x32_fp8_fp8 v[32:35], a[50:51], a[10:11], v[32:35]// 0000000079B4: D3F30020 1C821532
	v_mfma_f32_16x16x32_fp8_fp8 v[32:35], a[52:53], a[12:13], v[32:35]// 0000000079BC: D3F30020 1C821934
	buffer_load_dwordx4 a[84:87], v230, s[12:15], 0 offen offset:3072// 0000000079C4: E05C1C00 808354E6
	v_mfma_f32_16x16x32_fp8_fp8 v[32:35], a[54:55], a[14:15], v[32:35]// 0000000079CC: D3F30020 1C821D36
	v_mfma_f32_16x16x32_fp8_fp8 v[36:39], a[24:25], a[16:17], 0// 0000000079D4: D3F30024 1A022118
	v_mfma_f32_16x16x32_fp8_fp8 v[36:39], a[26:27], a[18:19], v[36:39]// 0000000079DC: D3F30024 1C92251A
	v_mfma_f32_16x16x32_fp8_fp8 v[36:39], a[28:29], a[20:21], v[36:39]// 0000000079E4: D3F30024 1C92291C
	v_mfma_f32_16x16x32_fp8_fp8 v[36:39], a[30:31], a[22:23], v[36:39]// 0000000079EC: D3F30024 1C922D1E
	v_mfma_f32_16x16x32_fp8_fp8 v[40:43], a[32:33], a[16:17], 0// 0000000079F4: D3F30028 1A022120
	v_mfma_f32_16x16x32_fp8_fp8 v[40:43], a[34:35], a[18:19], v[40:43]// 0000000079FC: D3F30028 1CA22522
	v_mfma_f32_16x16x32_fp8_fp8 v[40:43], a[36:37], a[20:21], v[40:43]// 000000007A04: D3F30028 1CA22924
	v_mfma_f32_16x16x32_fp8_fp8 v[40:43], a[38:39], a[22:23], v[40:43]// 000000007A0C: D3F30028 1CA22D26
	v_mfma_f32_16x16x32_fp8_fp8 v[44:47], a[40:41], a[16:17], 0// 000000007A14: D3F3002C 1A022128
	v_mfma_f32_16x16x32_fp8_fp8 v[44:47], a[42:43], a[18:19], v[44:47]// 000000007A1C: D3F3002C 1CB2252A
	v_mfma_f32_16x16x32_fp8_fp8 v[44:47], a[44:45], a[20:21], v[44:47]// 000000007A24: D3F3002C 1CB2292C
	v_mfma_f32_16x16x32_fp8_fp8 v[44:47], a[46:47], a[22:23], v[44:47]// 000000007A2C: D3F3002C 1CB22D2E
	v_mfma_f32_16x16x32_fp8_fp8 v[48:51], a[48:49], a[16:17], 0// 000000007A34: D3F30030 1A022130
	v_mfma_f32_16x16x32_fp8_fp8 v[48:51], a[50:51], a[18:19], v[48:51]// 000000007A3C: D3F30030 1CC22532
	v_mfma_f32_16x16x32_fp8_fp8 v[48:51], a[52:53], a[20:21], v[48:51]// 000000007A44: D3F30030 1CC22934
	v_mfma_f32_16x16x32_fp8_fp8 v[48:51], a[54:55], a[22:23], v[48:51]// 000000007A4C: D3F30030 1CC22D36
	s_waitcnt vmcnt(16)                                        // 000000007A54: BF8C4F70
	v_pk_mul_f32 v[4:5], v[148:149], v[4:5]                    // 000000007A58: D3B14004 18020994
	v_pk_mul_f32 v[6:7], v[148:149], v[6:7]                    // 000000007A60: D3B14006 18020D94
	v_mul_f32_dpp v4, v154, v4 row_newbcast:0 row_mask:0xf bank_mask:0xf// 000000007A68: 0A0808FA FF01509A
	v_mul_f32_dpp v5, v154, v5 row_newbcast:1 row_mask:0xf bank_mask:0xf// 000000007A70: 0A0A0AFA FF01519A
	v_mul_f32_dpp v6, v154, v6 row_newbcast:2 row_mask:0xf bank_mask:0xf// 000000007A78: 0A0C0CFA FF01529A
	v_mul_f32_dpp v7, v154, v7 row_newbcast:3 row_mask:0xf bank_mask:0xf// 000000007A80: 0A0E0EFA FF01539A
	v_pk_mul_f32 v[8:9], v[148:149], v[8:9]                    // 000000007A88: D3B14008 18021194
	v_pk_mul_f32 v[10:11], v[148:149], v[10:11]                // 000000007A90: D3B1400A 18021594
	v_mul_f32_dpp v8, v154, v8 row_newbcast:4 row_mask:0xf bank_mask:0xf// 000000007A98: 0A1010FA FF01549A
	v_mul_f32_dpp v9, v154, v9 row_newbcast:5 row_mask:0xf bank_mask:0xf// 000000007AA0: 0A1212FA FF01559A
	v_mul_f32_dpp v10, v154, v10 row_newbcast:6 row_mask:0xf bank_mask:0xf// 000000007AA8: 0A1414FA FF01569A
	v_mul_f32_dpp v11, v154, v11 row_newbcast:7 row_mask:0xf bank_mask:0xf// 000000007AB0: 0A1616FA FF01579A
	v_pk_mul_f32 v[12:13], v[148:149], v[12:13]                // 000000007AB8: D3B1400C 18021994
	v_pk_mul_f32 v[14:15], v[148:149], v[14:15]                // 000000007AC0: D3B1400E 18021D94
	v_mul_f32_dpp v12, v154, v12 row_newbcast:8 row_mask:0xf bank_mask:0xf// 000000007AC8: 0A1818FA FF01589A
	v_mul_f32_dpp v13, v154, v13 row_newbcast:9 row_mask:0xf bank_mask:0xf// 000000007AD0: 0A1A1AFA FF01599A
	v_mul_f32_dpp v14, v154, v14 row_newbcast:10 row_mask:0xf bank_mask:0xf// 000000007AD8: 0A1C1CFA FF015A9A
	v_mul_f32_dpp v15, v154, v15 row_newbcast:11 row_mask:0xf bank_mask:0xf// 000000007AE0: 0A1E1EFA FF015B9A
	v_pk_mul_f32 v[16:17], v[148:149], v[16:17]                // 000000007AE8: D3B14010 18022194
	v_pk_mul_f32 v[18:19], v[148:149], v[18:19]                // 000000007AF0: D3B14012 18022594
	v_mul_f32_dpp v16, v154, v16 row_newbcast:12 row_mask:0xf bank_mask:0xf// 000000007AF8: 0A2020FA FF015C9A
	v_mul_f32_dpp v17, v154, v17 row_newbcast:13 row_mask:0xf bank_mask:0xf// 000000007B00: 0A2222FA FF015D9A
	v_mul_f32_dpp v18, v154, v18 row_newbcast:14 row_mask:0xf bank_mask:0xf// 000000007B08: 0A2424FA FF015E9A
	v_mul_f32_dpp v19, v154, v19 row_newbcast:15 row_mask:0xf bank_mask:0xf// 000000007B10: 0A2626FA FF015F9A
	v_pk_mul_f32 v[20:21], v[150:151], v[20:21]                // 000000007B18: D3B14014 18022996
	v_pk_mul_f32 v[22:23], v[150:151], v[22:23]                // 000000007B20: D3B14016 18022D96
	v_mul_f32_dpp v20, v154, v20 row_newbcast:0 row_mask:0xf bank_mask:0xf// 000000007B28: 0A2828FA FF01509A
	v_mul_f32_dpp v21, v154, v21 row_newbcast:1 row_mask:0xf bank_mask:0xf// 000000007B30: 0A2A2AFA FF01519A
	v_mul_f32_dpp v22, v154, v22 row_newbcast:2 row_mask:0xf bank_mask:0xf// 000000007B38: 0A2C2CFA FF01529A
	v_mul_f32_dpp v23, v154, v23 row_newbcast:3 row_mask:0xf bank_mask:0xf// 000000007B40: 0A2E2EFA FF01539A
	v_pk_mul_f32 v[24:25], v[150:151], v[24:25]                // 000000007B48: D3B14018 18023196
	v_pk_mul_f32 v[26:27], v[150:151], v[26:27]                // 000000007B50: D3B1401A 18023596
	v_mul_f32_dpp v24, v154, v24 row_newbcast:4 row_mask:0xf bank_mask:0xf// 000000007B58: 0A3030FA FF01549A
	v_mul_f32_dpp v25, v154, v25 row_newbcast:5 row_mask:0xf bank_mask:0xf// 000000007B60: 0A3232FA FF01559A
	v_mul_f32_dpp v26, v154, v26 row_newbcast:6 row_mask:0xf bank_mask:0xf// 000000007B68: 0A3434FA FF01569A
	v_mul_f32_dpp v27, v154, v27 row_newbcast:7 row_mask:0xf bank_mask:0xf// 000000007B70: 0A3636FA FF01579A
	v_pk_mul_f32 v[28:29], v[150:151], v[28:29]                // 000000007B78: D3B1401C 18023996
	v_pk_mul_f32 v[30:31], v[150:151], v[30:31]                // 000000007B80: D3B1401E 18023D96
	v_mul_f32_dpp v28, v154, v28 row_newbcast:8 row_mask:0xf bank_mask:0xf// 000000007B88: 0A3838FA FF01589A
	v_mul_f32_dpp v29, v154, v29 row_newbcast:9 row_mask:0xf bank_mask:0xf// 000000007B90: 0A3A3AFA FF01599A
	v_mul_f32_dpp v30, v154, v30 row_newbcast:10 row_mask:0xf bank_mask:0xf// 000000007B98: 0A3C3CFA FF015A9A
	v_mul_f32_dpp v31, v154, v31 row_newbcast:11 row_mask:0xf bank_mask:0xf// 000000007BA0: 0A3E3EFA FF015B9A
	v_pk_mul_f32 v[32:33], v[150:151], v[32:33]                // 000000007BA8: D3B14020 18024196
	v_pk_mul_f32 v[34:35], v[150:151], v[34:35]                // 000000007BB0: D3B14022 18024596
	v_mul_f32_dpp v32, v154, v32 row_newbcast:12 row_mask:0xf bank_mask:0xf// 000000007BB8: 0A4040FA FF015C9A
	v_mul_f32_dpp v33, v154, v33 row_newbcast:13 row_mask:0xf bank_mask:0xf// 000000007BC0: 0A4242FA FF015D9A
	v_mul_f32_dpp v34, v154, v34 row_newbcast:14 row_mask:0xf bank_mask:0xf// 000000007BC8: 0A4444FA FF015E9A
	v_mul_f32_dpp v35, v154, v35 row_newbcast:15 row_mask:0xf bank_mask:0xf// 000000007BD0: 0A4646FA FF015F9A
	v_pk_mul_f32 v[36:37], v[152:153], v[36:37]                // 000000007BD8: D3B14024 18024998
	v_pk_mul_f32 v[38:39], v[152:153], v[38:39]                // 000000007BE0: D3B14026 18024D98
	v_mul_f32_dpp v36, v154, v36 row_newbcast:0 row_mask:0xf bank_mask:0xf// 000000007BE8: 0A4848FA FF01509A
	v_mul_f32_dpp v37, v154, v37 row_newbcast:1 row_mask:0xf bank_mask:0xf// 000000007BF0: 0A4A4AFA FF01519A
	v_mul_f32_dpp v38, v154, v38 row_newbcast:2 row_mask:0xf bank_mask:0xf// 000000007BF8: 0A4C4CFA FF01529A
	v_mul_f32_dpp v39, v154, v39 row_newbcast:3 row_mask:0xf bank_mask:0xf// 000000007C00: 0A4E4EFA FF01539A
	v_pk_mul_f32 v[40:41], v[152:153], v[40:41]                // 000000007C08: D3B14028 18025198
	v_pk_mul_f32 v[42:43], v[152:153], v[42:43]                // 000000007C10: D3B1402A 18025598
	v_mul_f32_dpp v40, v154, v40 row_newbcast:4 row_mask:0xf bank_mask:0xf// 000000007C18: 0A5050FA FF01549A
	v_mul_f32_dpp v41, v154, v41 row_newbcast:5 row_mask:0xf bank_mask:0xf// 000000007C20: 0A5252FA FF01559A
	v_mul_f32_dpp v42, v154, v42 row_newbcast:6 row_mask:0xf bank_mask:0xf// 000000007C28: 0A5454FA FF01569A
	v_mul_f32_dpp v43, v154, v43 row_newbcast:7 row_mask:0xf bank_mask:0xf// 000000007C30: 0A5656FA FF01579A
	v_pk_mul_f32 v[44:45], v[152:153], v[44:45]                // 000000007C38: D3B1402C 18025998
	v_pk_mul_f32 v[46:47], v[152:153], v[46:47]                // 000000007C40: D3B1402E 18025D98
	v_mul_f32_dpp v44, v154, v44 row_newbcast:8 row_mask:0xf bank_mask:0xf// 000000007C48: 0A5858FA FF01589A
	v_mul_f32_dpp v45, v154, v45 row_newbcast:9 row_mask:0xf bank_mask:0xf// 000000007C50: 0A5A5AFA FF01599A
	v_mul_f32_dpp v46, v154, v46 row_newbcast:10 row_mask:0xf bank_mask:0xf// 000000007C58: 0A5C5CFA FF015A9A
	v_mul_f32_dpp v47, v154, v47 row_newbcast:11 row_mask:0xf bank_mask:0xf// 000000007C60: 0A5E5EFA FF015B9A
	v_pk_mul_f32 v[48:49], v[152:153], v[48:49]                // 000000007C68: D3B14030 18026198
	v_pk_mul_f32 v[50:51], v[152:153], v[50:51]                // 000000007C70: D3B14032 18026598
	v_mul_f32_dpp v48, v154, v48 row_newbcast:12 row_mask:0xf bank_mask:0xf// 000000007C78: 0A6060FA FF015C9A
	v_mul_f32_dpp v49, v154, v49 row_newbcast:13 row_mask:0xf bank_mask:0xf// 000000007C80: 0A6262FA FF015D9A
	v_mul_f32_dpp v50, v154, v50 row_newbcast:14 row_mask:0xf bank_mask:0xf// 000000007C88: 0A6464FA FF015E9A
	v_mul_f32_dpp v51, v154, v51 row_newbcast:15 row_mask:0xf bank_mask:0xf// 000000007C90: 0A6666FA FF015F9A
	v_mov_b32_e32 v182, v4                                     // 000000007C98: 7F6C0304
	v_max3_f32 v182, v4, v5, v182                              // 000000007C9C: D1D300B6 06DA0B04
	v_max3_f32 v182, v6, v7, v182                              // 000000007CA4: D1D300B6 06DA0F06
	v_max3_f32 v182, v8, v9, v182                              // 000000007CAC: D1D300B6 06DA1308
	v_max3_f32 v182, v10, v11, v182                            // 000000007CB4: D1D300B6 06DA170A
	v_max3_f32 v182, v12, v13, v182                            // 000000007CBC: D1D300B6 06DA1B0C
	v_max3_f32 v182, v14, v15, v182                            // 000000007CC4: D1D300B6 06DA1F0E
	v_max3_f32 v182, v16, v17, v182                            // 000000007CCC: D1D300B6 06DA2310
	v_max3_f32 v182, v18, v19, v182                            // 000000007CD4: D1D300B6 06DA2712
	v_mov_b32_e32 v183, v20                                    // 000000007CDC: 7F6E0314
	v_max3_f32 v183, v20, v21, v183                            // 000000007CE0: D1D300B7 06DE2B14
	v_max3_f32 v183, v22, v23, v183                            // 000000007CE8: D1D300B7 06DE2F16
	v_max3_f32 v183, v24, v25, v183                            // 000000007CF0: D1D300B7 06DE3318
	v_max3_f32 v183, v26, v27, v183                            // 000000007CF8: D1D300B7 06DE371A
	v_max3_f32 v183, v28, v29, v183                            // 000000007D00: D1D300B7 06DE3B1C
	v_max3_f32 v183, v30, v31, v183                            // 000000007D08: D1D300B7 06DE3F1E
	v_max3_f32 v183, v32, v33, v183                            // 000000007D10: D1D300B7 06DE4320
	v_max3_f32 v183, v34, v35, v183                            // 000000007D18: D1D300B7 06DE4722
	v_mov_b32_e32 v184, v36                                    // 000000007D20: 7F700324
	v_max3_f32 v184, v36, v37, v184                            // 000000007D24: D1D300B8 06E24B24
	v_max3_f32 v184, v38, v39, v184                            // 000000007D2C: D1D300B8 06E24F26
	v_max3_f32 v184, v40, v41, v184                            // 000000007D34: D1D300B8 06E25328
	v_max3_f32 v184, v42, v43, v184                            // 000000007D3C: D1D300B8 06E2572A
	v_max3_f32 v184, v44, v45, v184                            // 000000007D44: D1D300B8 06E25B2C
	v_max3_f32 v184, v46, v47, v184                            // 000000007D4C: D1D300B8 06E25F2E
	v_max3_f32 v184, v48, v49, v184                            // 000000007D54: D1D300B8 06E26330
	v_max3_f32 v184, v50, v51, v184                            // 000000007D5C: D1D300B8 06E26732
	v_pk_mul_f32 v[124:125], v[170:171], v[124:125]            // 000000007D64: D3B1407C 1802F9AA
	v_pk_mul_f32 v[126:127], v[170:171], v[126:127]            // 000000007D6C: D3B1407E 1802FDAA
	v_pk_mul_f32 v[128:129], v[170:171], v[128:129]            // 000000007D74: D3B14080 180301AA
	v_pk_mul_f32 v[130:131], v[170:171], v[130:131]            // 000000007D7C: D3B14082 180305AA
	v_pk_mul_f32 v[132:133], v[172:173], v[132:133]            // 000000007D84: D3B14084 180309AC
	v_pk_mul_f32 v[134:135], v[172:173], v[134:135]            // 000000007D8C: D3B14086 18030DAC
	v_pk_mul_f32 v[136:137], v[172:173], v[136:137]            // 000000007D94: D3B14088 180311AC
	v_pk_mul_f32 v[138:139], v[172:173], v[138:139]            // 000000007D9C: D3B1408A 180315AC
	v_pk_mul_f32 v[140:141], v[174:175], v[140:141]            // 000000007DA4: D3B1408C 180319AE
	v_pk_mul_f32 v[142:143], v[174:175], v[142:143]            // 000000007DAC: D3B1408E 18031DAE
	v_pk_mul_f32 v[144:145], v[174:175], v[144:145]            // 000000007DB4: D3B14090 180321AE
	v_pk_mul_f32 v[146:147], v[174:175], v[146:147]            // 000000007DBC: D3B14092 180325AE
	ds_bpermute_b32 v188, v208, v182                           // 000000007DC4: D87E0000 BC00B6D0
	ds_bpermute_b32 v189, v209, v182                           // 000000007DCC: D87E0000 BD00B6D1
	ds_bpermute_b32 v190, v210, v182                           // 000000007DD4: D87E0000 BE00B6D2
	ds_bpermute_b32 v191, v208, v183                           // 000000007DDC: D87E0000 BF00B7D0
	ds_bpermute_b32 v192, v209, v183                           // 000000007DE4: D87E0000 C000B7D1
	ds_bpermute_b32 v193, v210, v183                           // 000000007DEC: D87E0000 C100B7D2
	ds_bpermute_b32 v194, v208, v184                           // 000000007DF4: D87E0000 C200B8D0
	ds_bpermute_b32 v195, v209, v184                           // 000000007DFC: D87E0000 C300B8D1
	ds_bpermute_b32 v196, v210, v184                           // 000000007E04: D87E0000 C400B8D2
	s_waitcnt lgkmcnt(6)                                       // 000000007E0C: BF8CC67F
	v_max3_f32 v182, v188, v189, v182                          // 000000007E10: D1D300B6 06DB7BBC
	v_max_f32_e32 v182, v190, v182                             // 000000007E18: 176D6DBE
	s_waitcnt lgkmcnt(3)                                       // 000000007E1C: BF8CC37F
	v_max3_f32 v183, v191, v192, v183                          // 000000007E20: D1D300B7 06DF81BF
	v_max_f32_e32 v183, v193, v183                             // 000000007E28: 176F6FC1
	s_waitcnt lgkmcnt(0)                                       // 000000007E2C: BF8CC07F
	v_max3_f32 v184, v194, v195, v184                          // 000000007E30: D1D300B8 06E387C2
	v_max_f32_e32 v184, v196, v184                             // 000000007E38: 177171C4
	ds_write_b128 v249, v[182:185]                             // 000000007E3C: D9BE0000 0000B6F9
	s_waitcnt lgkmcnt(0)                                       // 000000007E44: BF8CC07F
	s_barrier                                                  // 000000007E48: BF8A0000
	v_pk_mul_f32 v[100:101], v[158:159], v[100:101]            // 000000007E4C: D3B14064 1802C99E
	v_pk_mul_f32 v[102:103], v[158:159], v[102:103]            // 000000007E54: D3B14066 1802CD9E
	v_pk_mul_f32 v[104:105], v[158:159], v[104:105]            // 000000007E5C: D3B14068 1802D19E
	v_pk_mul_f32 v[106:107], v[158:159], v[106:107]            // 000000007E64: D3B1406A 1802D59E
	v_pk_mul_f32 v[108:109], v[160:161], v[108:109]            // 000000007E6C: D3B1406C 1802D9A0
	v_pk_mul_f32 v[110:111], v[160:161], v[110:111]            // 000000007E74: D3B1406E 1802DDA0
	v_pk_mul_f32 v[112:113], v[160:161], v[112:113]            // 000000007E7C: D3B14070 1802E1A0
	v_pk_mul_f32 v[114:115], v[160:161], v[114:115]            // 000000007E84: D3B14072 1802E5A0
	v_pk_mul_f32 v[116:117], v[162:163], v[116:117]            // 000000007E8C: D3B14074 1802E9A2
	v_pk_mul_f32 v[118:119], v[162:163], v[118:119]            // 000000007E94: D3B14076 1802EDA2
	v_pk_mul_f32 v[120:121], v[162:163], v[120:121]            // 000000007E9C: D3B14078 1802F1A2
	v_pk_mul_f32 v[122:123], v[162:163], v[122:123]            // 000000007EA4: D3B1407A 1802F5A2
	ds_read_b128 v[188:191], v250                              // 000000007EAC: D9FE0000 BC0000FA
	ds_read_b128 v[192:195], v250 offset:256                   // 000000007EB4: D9FE0100 C00000FA
	ds_read_b128 v[196:199], v250 offset:512                   // 000000007EBC: D9FE0200 C40000FA
	ds_read_b128 v[200:203], v250 offset:768                   // 000000007EC4: D9FE0300 C80000FA
	s_waitcnt lgkmcnt(0)                                       // 000000007ECC: BF8CC07F
	v_max3_f32 v182, v188, v192, v182                          // 000000007ED0: D1D300B6 06DB81BC
	v_max3_f32 v183, v189, v193, v183                          // 000000007ED8: D1D300B7 06DF83BD
	v_max3_f32 v184, v190, v194, v184                          // 000000007EE0: D1D300B8 06E385BE
	v_max3_f32 v182, v196, v200, v182                          // 000000007EE8: D1D300B6 06DB91C4
	v_max3_f32 v183, v197, v201, v183                          // 000000007EF0: D1D300B7 06DF93C5
	v_max3_f32 v184, v198, v202, v184                          // 000000007EF8: D1D300B8 06E395C6
	v_max_f32_e32 v167, v182, v164                             // 000000007F00: 174F49B6
	v_mul_f32_e64 v204, -s46, v167                             // 000000007F04: D10500CC 20034E2E
	v_mov_b32_e32 v205, v204                                   // 000000007F0C: 7F9A03CC
	v_pk_fma_f32 v[4:5], v[4:5], s[46:47], v[204:205]          // 000000007F10: D3B04004 1F305D04
	v_pk_fma_f32 v[6:7], v[6:7], s[46:47], v[204:205]          // 000000007F18: D3B04006 1F305D06
	v_exp_f32_e32 v4, v4                                       // 000000007F20: 7E084104
	v_exp_f32_e32 v5, v5                                       // 000000007F24: 7E0A4105
	v_exp_f32_e32 v6, v6                                       // 000000007F28: 7E0C4106
	v_exp_f32_e32 v7, v7                                       // 000000007F2C: 7E0E4107
	v_pk_fma_f32 v[8:9], v[8:9], s[46:47], v[204:205]          // 000000007F30: D3B04008 1F305D08
	v_pk_fma_f32 v[10:11], v[10:11], s[46:47], v[204:205]      // 000000007F38: D3B0400A 1F305D0A
	v_exp_f32_e32 v8, v8                                       // 000000007F40: 7E104108
	v_exp_f32_e32 v9, v9                                       // 000000007F44: 7E124109
	v_exp_f32_e32 v10, v10                                     // 000000007F48: 7E14410A
	v_exp_f32_e32 v11, v11                                     // 000000007F4C: 7E16410B
	v_pk_fma_f32 v[12:13], v[12:13], s[46:47], v[204:205]      // 000000007F50: D3B0400C 1F305D0C
	v_pk_fma_f32 v[14:15], v[14:15], s[46:47], v[204:205]      // 000000007F58: D3B0400E 1F305D0E
	v_exp_f32_e32 v12, v12                                     // 000000007F60: 7E18410C
	v_exp_f32_e32 v13, v13                                     // 000000007F64: 7E1A410D
	v_exp_f32_e32 v14, v14                                     // 000000007F68: 7E1C410E
	v_exp_f32_e32 v15, v15                                     // 000000007F6C: 7E1E410F
	v_pk_fma_f32 v[16:17], v[16:17], s[46:47], v[204:205]      // 000000007F70: D3B04010 1F305D10
	v_pk_fma_f32 v[18:19], v[18:19], s[46:47], v[204:205]      // 000000007F78: D3B04012 1F305D12
	v_exp_f32_e32 v16, v16                                     // 000000007F80: 7E204110
	v_exp_f32_e32 v17, v17                                     // 000000007F84: 7E224111
	v_exp_f32_e32 v18, v18                                     // 000000007F88: 7E244112
	v_exp_f32_e32 v19, v19                                     // 000000007F8C: 7E264113
	v_max_f32_e32 v168, v183, v165                             // 000000007F90: 17514BB7
	v_mul_f32_e64 v204, -s46, v168                             // 000000007F94: D10500CC 2003502E
	v_mov_b32_e32 v205, v204                                   // 000000007F9C: 7F9A03CC
	v_pk_fma_f32 v[20:21], v[20:21], s[46:47], v[204:205]      // 000000007FA0: D3B04014 1F305D14
	v_pk_fma_f32 v[22:23], v[22:23], s[46:47], v[204:205]      // 000000007FA8: D3B04016 1F305D16
	v_exp_f32_e32 v20, v20                                     // 000000007FB0: 7E284114
	v_exp_f32_e32 v21, v21                                     // 000000007FB4: 7E2A4115
	v_exp_f32_e32 v22, v22                                     // 000000007FB8: 7E2C4116
	v_exp_f32_e32 v23, v23                                     // 000000007FBC: 7E2E4117
	v_pk_fma_f32 v[24:25], v[24:25], s[46:47], v[204:205]      // 000000007FC0: D3B04018 1F305D18
	v_pk_fma_f32 v[26:27], v[26:27], s[46:47], v[204:205]      // 000000007FC8: D3B0401A 1F305D1A
	v_exp_f32_e32 v24, v24                                     // 000000007FD0: 7E304118
	v_exp_f32_e32 v25, v25                                     // 000000007FD4: 7E324119
	v_exp_f32_e32 v26, v26                                     // 000000007FD8: 7E34411A
	v_exp_f32_e32 v27, v27                                     // 000000007FDC: 7E36411B
	v_pk_fma_f32 v[28:29], v[28:29], s[46:47], v[204:205]      // 000000007FE0: D3B0401C 1F305D1C
	v_pk_fma_f32 v[30:31], v[30:31], s[46:47], v[204:205]      // 000000007FE8: D3B0401E 1F305D1E
	v_exp_f32_e32 v28, v28                                     // 000000007FF0: 7E38411C
	v_exp_f32_e32 v29, v29                                     // 000000007FF4: 7E3A411D
	v_exp_f32_e32 v30, v30                                     // 000000007FF8: 7E3C411E
	v_exp_f32_e32 v31, v31                                     // 000000007FFC: 7E3E411F
	v_pk_fma_f32 v[32:33], v[32:33], s[46:47], v[204:205]      // 000000008000: D3B04020 1F305D20
	v_pk_fma_f32 v[34:35], v[34:35], s[46:47], v[204:205]      // 000000008008: D3B04022 1F305D22
	v_exp_f32_e32 v32, v32                                     // 000000008010: 7E404120
	v_exp_f32_e32 v33, v33                                     // 000000008014: 7E424121
	v_exp_f32_e32 v34, v34                                     // 000000008018: 7E444122
	v_exp_f32_e32 v35, v35                                     // 00000000801C: 7E464123
	v_max_f32_e32 v169, v184, v166                             // 000000008020: 17534DB8
	v_mul_f32_e64 v204, -s46, v169                             // 000000008024: D10500CC 2003522E
	v_mov_b32_e32 v205, v204                                   // 00000000802C: 7F9A03CC
	v_pk_fma_f32 v[36:37], v[36:37], s[46:47], v[204:205]      // 000000008030: D3B04024 1F305D24
	v_pk_fma_f32 v[38:39], v[38:39], s[46:47], v[204:205]      // 000000008038: D3B04026 1F305D26
	v_exp_f32_e32 v36, v36                                     // 000000008040: 7E484124
	v_exp_f32_e32 v37, v37                                     // 000000008044: 7E4A4125
	v_exp_f32_e32 v38, v38                                     // 000000008048: 7E4C4126
	v_exp_f32_e32 v39, v39                                     // 00000000804C: 7E4E4127
	v_pk_fma_f32 v[40:41], v[40:41], s[46:47], v[204:205]      // 000000008050: D3B04028 1F305D28
	v_pk_fma_f32 v[42:43], v[42:43], s[46:47], v[204:205]      // 000000008058: D3B0402A 1F305D2A
	v_exp_f32_e32 v40, v40                                     // 000000008060: 7E504128
	v_exp_f32_e32 v41, v41                                     // 000000008064: 7E524129
	v_exp_f32_e32 v42, v42                                     // 000000008068: 7E54412A
	v_exp_f32_e32 v43, v43                                     // 00000000806C: 7E56412B
	v_pk_fma_f32 v[44:45], v[44:45], s[46:47], v[204:205]      // 000000008070: D3B0402C 1F305D2C
	v_pk_fma_f32 v[46:47], v[46:47], s[46:47], v[204:205]      // 000000008078: D3B0402E 1F305D2E
	v_exp_f32_e32 v44, v44                                     // 000000008080: 7E58412C
	v_exp_f32_e32 v45, v45                                     // 000000008084: 7E5A412D
	v_exp_f32_e32 v46, v46                                     // 000000008088: 7E5C412E
	v_exp_f32_e32 v47, v47                                     // 00000000808C: 7E5E412F
	v_pk_fma_f32 v[48:49], v[48:49], s[46:47], v[204:205]      // 000000008090: D3B04030 1F305D30
	v_pk_fma_f32 v[50:51], v[50:51], s[46:47], v[204:205]      // 000000008098: D3B04032 1F305D32
	v_exp_f32_e32 v48, v48                                     // 0000000080A0: 7E604130
	v_exp_f32_e32 v49, v49                                     // 0000000080A4: 7E624131
	v_exp_f32_e32 v50, v50                                     // 0000000080A8: 7E644132
	v_exp_f32_e32 v51, v51                                     // 0000000080AC: 7E664133
	v_mul_f32_dpp v52, v156, v4 row_newbcast:0 row_mask:0xf bank_mask:0xf// 0000000080B0: 0A6808FA FF01509C
	v_mul_f32_dpp v53, v156, v5 row_newbcast:1 row_mask:0xf bank_mask:0xf// 0000000080B8: 0A6A0AFA FF01519C
	v_mul_f32_dpp v54, v156, v6 row_newbcast:2 row_mask:0xf bank_mask:0xf// 0000000080C0: 0A6C0CFA FF01529C
	v_mul_f32_dpp v55, v156, v7 row_newbcast:3 row_mask:0xf bank_mask:0xf// 0000000080C8: 0A6E0EFA FF01539C
	v_mul_f32_dpp v56, v156, v8 row_newbcast:4 row_mask:0xf bank_mask:0xf// 0000000080D0: 0A7010FA FF01549C
	v_mul_f32_dpp v57, v156, v9 row_newbcast:5 row_mask:0xf bank_mask:0xf// 0000000080D8: 0A7212FA FF01559C
	v_mul_f32_dpp v58, v156, v10 row_newbcast:6 row_mask:0xf bank_mask:0xf// 0000000080E0: 0A7414FA FF01569C
	v_mul_f32_dpp v59, v156, v11 row_newbcast:7 row_mask:0xf bank_mask:0xf// 0000000080E8: 0A7616FA FF01579C
	v_mul_f32_dpp v60, v156, v12 row_newbcast:8 row_mask:0xf bank_mask:0xf// 0000000080F0: 0A7818FA FF01589C
	v_mul_f32_dpp v61, v156, v13 row_newbcast:9 row_mask:0xf bank_mask:0xf// 0000000080F8: 0A7A1AFA FF01599C
	v_mul_f32_dpp v62, v156, v14 row_newbcast:10 row_mask:0xf bank_mask:0xf// 000000008100: 0A7C1CFA FF015A9C
	v_mul_f32_dpp v63, v156, v15 row_newbcast:11 row_mask:0xf bank_mask:0xf// 000000008108: 0A7E1EFA FF015B9C
	v_mul_f32_dpp v64, v156, v16 row_newbcast:12 row_mask:0xf bank_mask:0xf// 000000008110: 0A8020FA FF015C9C
	v_mul_f32_dpp v65, v156, v17 row_newbcast:13 row_mask:0xf bank_mask:0xf// 000000008118: 0A8222FA FF015D9C
	v_mul_f32_dpp v66, v156, v18 row_newbcast:14 row_mask:0xf bank_mask:0xf// 000000008120: 0A8424FA FF015E9C
	v_mul_f32_dpp v67, v156, v19 row_newbcast:15 row_mask:0xf bank_mask:0xf// 000000008128: 0A8626FA FF015F9C
	v_mul_f32_dpp v68, v156, v20 row_newbcast:0 row_mask:0xf bank_mask:0xf// 000000008130: 0A8828FA FF01509C
	v_mul_f32_dpp v69, v156, v21 row_newbcast:1 row_mask:0xf bank_mask:0xf// 000000008138: 0A8A2AFA FF01519C
	v_mul_f32_dpp v70, v156, v22 row_newbcast:2 row_mask:0xf bank_mask:0xf// 000000008140: 0A8C2CFA FF01529C
	v_mul_f32_dpp v71, v156, v23 row_newbcast:3 row_mask:0xf bank_mask:0xf// 000000008148: 0A8E2EFA FF01539C
	v_mul_f32_dpp v72, v156, v24 row_newbcast:4 row_mask:0xf bank_mask:0xf// 000000008150: 0A9030FA FF01549C
	v_mul_f32_dpp v73, v156, v25 row_newbcast:5 row_mask:0xf bank_mask:0xf// 000000008158: 0A9232FA FF01559C
	v_mul_f32_dpp v74, v156, v26 row_newbcast:6 row_mask:0xf bank_mask:0xf// 000000008160: 0A9434FA FF01569C
	v_mul_f32_dpp v75, v156, v27 row_newbcast:7 row_mask:0xf bank_mask:0xf// 000000008168: 0A9636FA FF01579C
	v_mul_f32_dpp v76, v156, v28 row_newbcast:8 row_mask:0xf bank_mask:0xf// 000000008170: 0A9838FA FF01589C
	v_mul_f32_dpp v77, v156, v29 row_newbcast:9 row_mask:0xf bank_mask:0xf// 000000008178: 0A9A3AFA FF01599C
	v_mul_f32_dpp v78, v156, v30 row_newbcast:10 row_mask:0xf bank_mask:0xf// 000000008180: 0A9C3CFA FF015A9C
	v_mul_f32_dpp v79, v156, v31 row_newbcast:11 row_mask:0xf bank_mask:0xf// 000000008188: 0A9E3EFA FF015B9C
	v_mul_f32_dpp v80, v156, v32 row_newbcast:12 row_mask:0xf bank_mask:0xf// 000000008190: 0AA040FA FF015C9C
	v_mul_f32_dpp v81, v156, v33 row_newbcast:13 row_mask:0xf bank_mask:0xf// 000000008198: 0AA242FA FF015D9C
	v_mul_f32_dpp v82, v156, v34 row_newbcast:14 row_mask:0xf bank_mask:0xf// 0000000081A0: 0AA444FA FF015E9C
	v_mul_f32_dpp v83, v156, v35 row_newbcast:15 row_mask:0xf bank_mask:0xf// 0000000081A8: 0AA646FA FF015F9C
	v_mul_f32_dpp v84, v156, v36 row_newbcast:0 row_mask:0xf bank_mask:0xf// 0000000081B0: 0AA848FA FF01509C
	v_mul_f32_dpp v85, v156, v37 row_newbcast:1 row_mask:0xf bank_mask:0xf// 0000000081B8: 0AAA4AFA FF01519C
	v_mul_f32_dpp v86, v156, v38 row_newbcast:2 row_mask:0xf bank_mask:0xf// 0000000081C0: 0AAC4CFA FF01529C
	v_mul_f32_dpp v87, v156, v39 row_newbcast:3 row_mask:0xf bank_mask:0xf// 0000000081C8: 0AAE4EFA FF01539C
	v_mul_f32_dpp v88, v156, v40 row_newbcast:4 row_mask:0xf bank_mask:0xf// 0000000081D0: 0AB050FA FF01549C
	v_mul_f32_dpp v89, v156, v41 row_newbcast:5 row_mask:0xf bank_mask:0xf// 0000000081D8: 0AB252FA FF01559C
	v_mul_f32_dpp v90, v156, v42 row_newbcast:6 row_mask:0xf bank_mask:0xf// 0000000081E0: 0AB454FA FF01569C
	v_mul_f32_dpp v91, v156, v43 row_newbcast:7 row_mask:0xf bank_mask:0xf// 0000000081E8: 0AB656FA FF01579C
	v_mul_f32_dpp v92, v156, v44 row_newbcast:8 row_mask:0xf bank_mask:0xf// 0000000081F0: 0AB858FA FF01589C
	v_mul_f32_dpp v93, v156, v45 row_newbcast:9 row_mask:0xf bank_mask:0xf// 0000000081F8: 0ABA5AFA FF01599C
	v_mul_f32_dpp v94, v156, v46 row_newbcast:10 row_mask:0xf bank_mask:0xf// 000000008200: 0ABC5CFA FF015A9C
	v_mul_f32_dpp v95, v156, v47 row_newbcast:11 row_mask:0xf bank_mask:0xf// 000000008208: 0ABE5EFA FF015B9C
	v_mul_f32_dpp v96, v156, v48 row_newbcast:12 row_mask:0xf bank_mask:0xf// 000000008210: 0AC060FA FF015C9C
	v_mul_f32_dpp v97, v156, v49 row_newbcast:13 row_mask:0xf bank_mask:0xf// 000000008218: 0AC262FA FF015D9C
	v_mul_f32_dpp v98, v156, v50 row_newbcast:14 row_mask:0xf bank_mask:0xf// 000000008220: 0AC464FA FF015E9C
	v_mul_f32_dpp v99, v156, v51 row_newbcast:15 row_mask:0xf bank_mask:0xf// 000000008228: 0AC666FA FF015F9C
	buffer_load_dword v155, v235, s[20:23], 0 offen            // 000000008230: E0501000 80059BEB
	v_sub_f32_e32 v170, v164, v167                             // 000000008238: 05554FA4
	v_cmp_eq_u32_e64 s[98:99], v222, v164                      // 00000000823C: D0CA0062 000349DE
	v_cndmask_b32_e64 v170, v170, 0, s[98:99]                  // 000000008244: D10000AA 018901AA
	v_mov_b32_e32 v164, v167                                   // 00000000824C: 7F4803A7
	v_mul_f32_e32 v170, s46, v170                              // 000000008250: 0B55542E
	v_exp_f32_e32 v170, v170                                   // 000000008254: 7F5441AA
	v_sub_f32_e32 v172, v165, v168                             // 000000008258: 055951A5
	v_cmp_eq_u32_e64 s[98:99], v222, v165                      // 00000000825C: D0CA0062 00034BDE
	v_cndmask_b32_e64 v172, v172, 0, s[98:99]                  // 000000008264: D10000AC 018901AC
	v_mov_b32_e32 v165, v168                                   // 00000000826C: 7F4A03A8
	v_mul_f32_e32 v172, s46, v172                              // 000000008270: 0B59582E
	v_exp_f32_e32 v172, v172                                   // 000000008274: 7F5841AC
	v_sub_f32_e32 v174, v166, v169                             // 000000008278: 055D53A6
	v_cmp_eq_u32_e64 s[98:99], v222, v166                      // 00000000827C: D0CA0062 00034DDE
	v_cndmask_b32_e64 v174, v174, 0, s[98:99]                  // 000000008284: D10000AE 018901AE
	v_mov_b32_e32 v166, v169                                   // 00000000828C: 7F4C03A9
	v_mul_f32_e32 v174, s46, v174                              // 000000008290: 0B5D5C2E
	v_exp_f32_e32 v174, v174                                   // 000000008294: 7F5C41AE
	v_mov_b32_e32 v171, v170                                   // 000000008298: 7F5603AA
	v_mov_b32_e32 v173, v172                                   // 00000000829C: 7F5A03AC
	v_mov_b32_e32 v175, v174                                   // 0000000082A0: 7F5E03AE
	s_waitcnt lgkmcnt(0)                                       // 0000000082A4: BF8CC07F
	s_barrier                                                  // 0000000082A8: BF8A0000
	buffer_load_dword v157, v236, s[24:27], 0 offen            // 0000000082AC: E0501000 80069DEC
	v_mul_f32_e32 v176, v170, v176                             // 0000000082B4: 0B6161AA
	v_mov_b32_e32 v177, 0                                      // 0000000082B8: 7F620280
	v_pk_add_f32 v[176:177], v[4:5], v[176:177]                // 0000000082BC: D3B240B0 18036104
	v_pk_add_f32 v[176:177], v[6:7], v[176:177]                // 0000000082C4: D3B240B0 18036106
	v_pk_add_f32 v[176:177], v[8:9], v[176:177]                // 0000000082CC: D3B240B0 18036108
	v_pk_add_f32 v[176:177], v[10:11], v[176:177]              // 0000000082D4: D3B240B0 1803610A
	v_pk_add_f32 v[176:177], v[12:13], v[176:177]              // 0000000082DC: D3B240B0 1803610C
	v_pk_add_f32 v[176:177], v[14:15], v[176:177]              // 0000000082E4: D3B240B0 1803610E
	v_pk_add_f32 v[176:177], v[16:17], v[176:177]              // 0000000082EC: D3B240B0 18036110
	v_pk_add_f32 v[176:177], v[18:19], v[176:177]              // 0000000082F4: D3B240B0 18036112
	v_add_f32_e32 v176, v177, v176                             // 0000000082FC: 036161B1
	v_mul_f32_e32 v178, v172, v178                             // 000000008300: 0B6565AC
	v_mov_b32_e32 v179, 0                                      // 000000008304: 7F660280
	v_pk_add_f32 v[178:179], v[20:21], v[178:179]              // 000000008308: D3B240B2 18036514
	v_pk_add_f32 v[178:179], v[22:23], v[178:179]              // 000000008310: D3B240B2 18036516
	;; [unrolled: 1-line block ×3, first 2 shown]
	v_pk_add_f32 v[178:179], v[26:27], v[178:179]              // 000000008320: D3B240B2 1803651A
	v_pk_add_f32 v[178:179], v[28:29], v[178:179]              // 000000008328: D3B240B2 1803651C
	v_pk_add_f32 v[178:179], v[30:31], v[178:179]              // 000000008330: D3B240B2 1803651E
	v_pk_add_f32 v[178:179], v[32:33], v[178:179]              // 000000008338: D3B240B2 18036520
	v_pk_add_f32 v[178:179], v[34:35], v[178:179]              // 000000008340: D3B240B2 18036522
	v_add_f32_e32 v178, v179, v178                             // 000000008348: 036565B3
	v_mul_f32_e32 v180, v174, v180                             // 00000000834C: 0B6969AE
	v_mov_b32_e32 v181, 0                                      // 000000008350: 7F6A0280
	v_pk_add_f32 v[180:181], v[36:37], v[180:181]              // 000000008354: D3B240B4 18036924
	v_pk_add_f32 v[180:181], v[38:39], v[180:181]              // 00000000835C: D3B240B4 18036926
	v_pk_add_f32 v[180:181], v[40:41], v[180:181]              // 000000008364: D3B240B4 18036928
	v_pk_add_f32 v[180:181], v[42:43], v[180:181]              // 00000000836C: D3B240B4 1803692A
	v_pk_add_f32 v[180:181], v[44:45], v[180:181]              // 000000008374: D3B240B4 1803692C
	v_pk_add_f32 v[180:181], v[46:47], v[180:181]              // 00000000837C: D3B240B4 1803692E
	v_pk_add_f32 v[180:181], v[48:49], v[180:181]              // 000000008384: D3B240B4 18036930
	v_pk_add_f32 v[180:181], v[50:51], v[180:181]              // 00000000838C: D3B240B4 18036932
	v_add_f32_e32 v180, v181, v180                             // 000000008394: 036969B5
	s_waitcnt lgkmcnt(0)                                       // 000000008398: BF8CC07F
	v_sub_f32_e32 v182, v182, v164                             // 00000000839C: 056D49B6
	v_sub_f32_e32 v183, v183, v165                             // 0000000083A0: 056F4BB7
	v_sub_f32_e32 v184, v184, v166                             // 0000000083A4: 05714DB8
	v_mul_f32_e32 v182, s46, v182                              // 0000000083A8: 0B6D6C2E
	v_mul_f32_e32 v183, s46, v183                              // 0000000083AC: 0B6F6E2E
	v_mul_f32_e32 v184, s46, v184                              // 0000000083B0: 0B71702E
	v_exp_f32_e32 v182, v182                                   // 0000000083B4: 7F6C41B6
	v_exp_f32_e32 v183, v183                                   // 0000000083B8: 7F6E41B7
	v_exp_f32_e32 v184, v184                                   // 0000000083BC: 7F7041B8
	v_mul_f32_e32 v182, v156, v182                             // 0000000083C0: 0B6D6D9C
	v_mul_f32_e32 v183, v156, v183                             // 0000000083C4: 0B6F6F9C
	v_mul_f32_e32 v184, v156, v184                             // 0000000083C8: 0B71719C
	v_add_f32_e32 v182, 0x3089705f, v182                       // 0000000083CC: 036D6CFF 3089705F
	v_add_f32_e32 v183, 0x3089705f, v183                       // 0000000083D4: 036F6EFF 3089705F
	v_add_f32_e32 v184, 0x3089705f, v184                       // 0000000083DC: 037170FF 3089705F
	v_rcp_f32_e32 v182, v182                                   // 0000000083E4: 7F6C45B6
	v_rcp_f32_e32 v183, v183                                   // 0000000083E8: 7F6E45B7
	v_rcp_f32_e32 v184, v184                                   // 0000000083EC: 7F7045B8
	v_mul_f32_e32 v182, 0x43700000, v182                       // 0000000083F0: 0B6D6CFF 43700000
	v_mul_f32_e32 v183, 0x43700000, v183                       // 0000000083F8: 0B6F6EFF 43700000
	v_mul_f32_e32 v184, 0x43700000, v184                       // 000000008400: 0B7170FF 43700000
	v_mov_b32_e32 v186, v184                                   // 000000008408: 7F7403B8
	v_mov_b32_e32 v187, v184                                   // 00000000840C: 7F7603B8
	v_mov_b32_e32 v184, v183                                   // 000000008410: 7F7003B7
	v_mov_b32_e32 v185, v183                                   // 000000008414: 7F7203B7
	v_mov_b32_e32 v183, v182                                   // 000000008418: 7F6E03B6
	v_pk_mul_f32 v[4:5], v[182:183], v[52:53]                  // 00000000841C: D3B14004 180269B6
	v_pk_mul_f32 v[6:7], v[182:183], v[54:55]                  // 000000008424: D3B14006 18026DB6
	v_pk_mul_f32 v[8:9], v[182:183], v[56:57]                  // 00000000842C: D3B14008 180271B6
	v_pk_mul_f32 v[10:11], v[182:183], v[58:59]                // 000000008434: D3B1400A 180275B6
	v_pk_mul_f32 v[12:13], v[182:183], v[60:61]                // 00000000843C: D3B1400C 180279B6
	v_pk_mul_f32 v[14:15], v[182:183], v[62:63]                // 000000008444: D3B1400E 18027DB6
	v_pk_mul_f32 v[16:17], v[182:183], v[64:65]                // 00000000844C: D3B14010 180281B6
	v_pk_mul_f32 v[18:19], v[182:183], v[66:67]                // 000000008454: D3B14012 180285B6
	v_pk_mul_f32 v[20:21], v[184:185], v[68:69]                // 00000000845C: D3B14014 180289B8
	v_pk_mul_f32 v[22:23], v[184:185], v[70:71]                // 000000008464: D3B14016 18028DB8
	v_pk_mul_f32 v[24:25], v[184:185], v[72:73]                // 00000000846C: D3B14018 180291B8
	v_pk_mul_f32 v[26:27], v[184:185], v[74:75]                // 000000008474: D3B1401A 180295B8
	v_pk_mul_f32 v[28:29], v[184:185], v[76:77]                // 00000000847C: D3B1401C 180299B8
	v_pk_mul_f32 v[30:31], v[184:185], v[78:79]                // 000000008484: D3B1401E 18029DB8
	v_pk_mul_f32 v[32:33], v[184:185], v[80:81]                // 00000000848C: D3B14020 1802A1B8
	v_pk_mul_f32 v[34:35], v[184:185], v[82:83]                // 000000008494: D3B14022 1802A5B8
	v_pk_mul_f32 v[36:37], v[186:187], v[84:85]                // 00000000849C: D3B14024 1802A9BA
	v_pk_mul_f32 v[38:39], v[186:187], v[86:87]                // 0000000084A4: D3B14026 1802ADBA
	v_pk_mul_f32 v[40:41], v[186:187], v[88:89]                // 0000000084AC: D3B14028 1802B1BA
	v_pk_mul_f32 v[42:43], v[186:187], v[90:91]                // 0000000084B4: D3B1402A 1802B5BA
	v_pk_mul_f32 v[44:45], v[186:187], v[92:93]                // 0000000084BC: D3B1402C 1802B9BA
	v_pk_mul_f32 v[46:47], v[186:187], v[94:95]                // 0000000084C4: D3B1402E 1802BDBA
	v_pk_mul_f32 v[48:49], v[186:187], v[96:97]                // 0000000084CC: D3B14030 1802C1BA
	v_pk_mul_f32 v[50:51], v[186:187], v[98:99]                // 0000000084D4: D3B14032 1802C5BA
	v_cvt_pk_fp8_f32 v4, v4, v5                                // 0000000084DC: D2A20004 00020B04
	v_cvt_pk_fp8_f32 v4, v6, v7 op_sel:[0,0,1]                 // 0000000084E4: D2A24004 00020F06
	v_cvt_pk_fp8_f32 v5, v8, v9                                // 0000000084EC: D2A20005 00021308
	v_cvt_pk_fp8_f32 v5, v10, v11 op_sel:[0,0,1]               // 0000000084F4: D2A24005 0002170A
	v_cvt_pk_fp8_f32 v6, v12, v13                              // 0000000084FC: D2A20006 00021B0C
	v_cvt_pk_fp8_f32 v6, v14, v15 op_sel:[0,0,1]               // 000000008504: D2A24006 00021F0E
	v_cvt_pk_fp8_f32 v7, v16, v17                              // 00000000850C: D2A20007 00022310
	v_cvt_pk_fp8_f32 v7, v18, v19 op_sel:[0,0,1]               // 000000008514: D2A24007 00022712
	v_cvt_pk_fp8_f32 v8, v20, v21                              // 00000000851C: D2A20008 00022B14
	v_cvt_pk_fp8_f32 v8, v22, v23 op_sel:[0,0,1]               // 000000008524: D2A24008 00022F16
	v_cvt_pk_fp8_f32 v9, v24, v25                              // 00000000852C: D2A20009 00023318
	v_cvt_pk_fp8_f32 v9, v26, v27 op_sel:[0,0,1]               // 000000008534: D2A24009 0002371A
	v_cvt_pk_fp8_f32 v10, v28, v29                             // 00000000853C: D2A2000A 00023B1C
	v_cvt_pk_fp8_f32 v10, v30, v31 op_sel:[0,0,1]              // 000000008544: D2A2400A 00023F1E
	v_cvt_pk_fp8_f32 v11, v32, v33                             // 00000000854C: D2A2000B 00024320
	v_cvt_pk_fp8_f32 v11, v34, v35 op_sel:[0,0,1]              // 000000008554: D2A2400B 00024722
	v_cvt_pk_fp8_f32 v12, v36, v37                             // 00000000855C: D2A2000C 00024B24
	v_cvt_pk_fp8_f32 v12, v38, v39 op_sel:[0,0,1]              // 000000008564: D2A2400C 00024F26
	v_cvt_pk_fp8_f32 v13, v40, v41                             // 00000000856C: D2A2000D 00025328
	v_cvt_pk_fp8_f32 v13, v42, v43 op_sel:[0,0,1]              // 000000008574: D2A2400D 0002572A
	v_cvt_pk_fp8_f32 v14, v44, v45                             // 00000000857C: D2A2000E 00025B2C
	v_cvt_pk_fp8_f32 v14, v46, v47 op_sel:[0,0,1]              // 000000008584: D2A2400E 00025F2E
	v_cvt_pk_fp8_f32 v15, v48, v49                             // 00000000858C: D2A2000F 00026330
	v_cvt_pk_fp8_f32 v15, v50, v51 op_sel:[0,0,1]              // 000000008594: D2A2400F 00026732
	ds_write_b32 v251, v4 offset:8192                          // 00000000859C: D81A2000 000004FB
	ds_write_b32 v251, v5 offset:9216                          // 0000000085A4: D81A2400 000005FB
	ds_write_b32 v251, v6 offset:10240                         // 0000000085AC: D81A2800 000006FB
	ds_write_b32 v251, v7 offset:11264                         // 0000000085B4: D81A2C00 000007FB
	ds_write_b32 v251, v8 offset:12288                         // 0000000085BC: D81A3000 000008FB
	ds_write_b32 v251, v9 offset:13312                         // 0000000085C4: D81A3400 000009FB
	ds_write_b32 v251, v10 offset:14336                        // 0000000085CC: D81A3800 00000AFB
	ds_write_b32 v251, v11 offset:15360                        // 0000000085D4: D81A3C00 00000BFB
	ds_write_b32 v251, v12 offset:16384                        // 0000000085DC: D81A4000 00000CFB
	ds_write_b32 v251, v13 offset:17408                        // 0000000085E4: D81A4400 00000DFB
	ds_write_b32 v251, v14 offset:18432                        // 0000000085EC: D81A4800 00000EFB
	ds_write_b32 v251, v15 offset:19456                        // 0000000085F4: D81A4C00 00000FFB
	v_rcp_f32_e32 v158, v182                                   // 0000000085FC: 7F3C45B6
	v_rcp_f32_e32 v160, v184                                   // 000000008600: 7F4045B8
	v_rcp_f32_e32 v162, v186                                   // 000000008604: 7F4445BA
	v_mov_b32_e32 v159, v158                                   // 000000008608: 7F3E039E
	v_mov_b32_e32 v161, v160                                   // 00000000860C: 7F4203A0
	v_mov_b32_e32 v163, v162                                   // 000000008610: 7F4603A2
	v_pk_add_f32 v[124:125], v[124:125], v[100:101]            // 000000008614: D3B2407C 1802C97C
	v_pk_add_f32 v[126:127], v[126:127], v[102:103]            // 00000000861C: D3B2407E 1802CD7E
	v_pk_add_f32 v[128:129], v[128:129], v[104:105]            // 000000008624: D3B24080 1802D180
	v_pk_add_f32 v[130:131], v[130:131], v[106:107]            // 00000000862C: D3B24082 1802D582
	v_pk_add_f32 v[132:133], v[132:133], v[108:109]            // 000000008634: D3B24084 1802D984
	v_pk_add_f32 v[134:135], v[134:135], v[110:111]            // 00000000863C: D3B24086 1802DD86
	v_pk_add_f32 v[136:137], v[136:137], v[112:113]            // 000000008644: D3B24088 1802E188
	v_pk_add_f32 v[138:139], v[138:139], v[114:115]            // 00000000864C: D3B2408A 1802E58A
	v_pk_add_f32 v[140:141], v[140:141], v[116:117]            // 000000008654: D3B2408C 1802E98C
	v_pk_add_f32 v[142:143], v[142:143], v[118:119]            // 00000000865C: D3B2408E 1802ED8E
	v_pk_add_f32 v[144:145], v[144:145], v[120:121]            // 000000008664: D3B24090 1802F190
	v_pk_add_f32 v[146:147], v[146:147], v[122:123]            // 00000000866C: D3B24092 1802F592
	s_waitcnt lgkmcnt(0)                                       // 000000008674: BF8CC07F
	s_barrier                                                  // 000000008678: BF8A0000
	ds_read_b128 v[4:7], v252 offset:8192                      // 00000000867C: D9FE2000 040000FC
	ds_read_b128 v[8:11], v252 offset:9216                     // 000000008684: D9FE2400 080000FC
	ds_read_b128 v[12:15], v252 offset:10240                   // 00000000868C: D9FE2800 0C0000FC
	ds_read_b128 v[16:19], v252 offset:11264                   // 000000008694: D9FE2C00 100000FC
	ds_read_b128 v[20:23], v252 offset:12288                   // 00000000869C: D9FE3000 140000FC
	ds_read_b128 v[24:27], v252 offset:13312                   // 0000000086A4: D9FE3400 180000FC
	ds_read_b128 v[28:31], v252 offset:14336                   // 0000000086AC: D9FE3800 1C0000FC
	ds_read_b128 v[32:35], v252 offset:15360                   // 0000000086B4: D9FE3C00 200000FC
	ds_read_b128 v[36:39], v252 offset:16384                   // 0000000086BC: D9FE4000 240000FC
	ds_read_b128 v[40:43], v252 offset:17408                   // 0000000086C4: D9FE4400 280000FC
	ds_read_b128 v[44:47], v252 offset:18432                   // 0000000086CC: D9FE4800 2C0000FC
	ds_read_b128 v[48:51], v252 offset:19456                   // 0000000086D4: D9FE4C00 300000FC
	s_waitcnt vmcnt(10)                                        // 0000000086DC: BF8C0F7A
	s_waitcnt lgkmcnt(11)                                      // 0000000086E0: BF8CCB7F
	v_mfma_f32_16x16x32_fp8_fp8 v[100:103], a[88:89], v[4:5], 0// 0000000086E4: D3F30064 0A020958
	s_lshl_b32 s68, s76, 2                                     // 0000000086EC: 8E44824C
	v_mfma_f32_16x16x32_fp8_fp8 v[104:107], a[104:105], v[4:5], 0// 0000000086F0: D3F30068 0A020968
	s_cmp_lt_u32 s76, s77                                      // 0000000086F8: BF0A4D4C
	s_cselect_b32 s68, s68, 0                                  // 0000000086FC: 85448044
	v_mfma_f32_16x16x32_fp8_fp8 v[100:103], a[90:91], v[6:7], v[100:103]// 000000008700: D3F30064 0D920D5A
	buffer_load_dwordx4 a[120:123], v231, s[16:19], 0 offen    // 000000008708: E05C1000 808478E7
	v_mfma_f32_16x16x32_fp8_fp8 v[104:107], a[106:107], v[6:7], v[104:107]// 000000008710: D3F30068 0DA20D6A
	s_addk_i32 s76, 0x1                                        // 000000008718: B74C0001
	s_waitcnt lgkmcnt(10)                                      // 00000000871C: BF8CCA7F
	v_mfma_f32_16x16x32_fp8_fp8 v[100:103], a[92:93], v[8:9], v[100:103]// 000000008720: D3F30064 0D92115C
	v_mfma_f32_16x16x32_fp8_fp8 v[104:107], a[108:109], v[8:9], v[104:107]// 000000008728: D3F30068 0DA2116C
	v_mfma_f32_16x16x32_fp8_fp8 v[100:103], a[94:95], v[10:11], v[100:103]// 000000008730: D3F30064 0D92155E
	buffer_load_dwordx4 a[124:127], v232, s[16:19], 0 offen    // 000000008738: E05C1000 80847CE8
	v_mfma_f32_16x16x32_fp8_fp8 v[104:107], a[110:111], v[10:11], v[104:107]// 000000008740: D3F30068 0DA2156E
	s_waitcnt lgkmcnt(9)                                       // 000000008748: BF8CC97F
	v_mfma_f32_16x16x32_fp8_fp8 v[100:103], a[96:97], v[12:13], v[100:103]// 00000000874C: D3F30064 0D921960
	v_mfma_f32_16x16x32_fp8_fp8 v[104:107], a[112:113], v[12:13], v[104:107]// 000000008754: D3F30068 0DA21970
	v_mfma_f32_16x16x32_fp8_fp8 v[100:103], a[98:99], v[14:15], v[100:103]// 00000000875C: D3F30064 0D921D62
	buffer_load_dwordx4 a[128:131], v233, s[16:19], 0 offen    // 000000008764: E05C1000 808480E9
	v_mfma_f32_16x16x32_fp8_fp8 v[104:107], a[114:115], v[14:15], v[104:107]// 00000000876C: D3F30068 0DA21D72
	s_waitcnt lgkmcnt(8)                                       // 000000008774: BF8CC87F
	v_mfma_f32_16x16x32_fp8_fp8 v[100:103], a[100:101], v[16:17], v[100:103]// 000000008778: D3F30064 0D922164
	v_mfma_f32_16x16x32_fp8_fp8 v[104:107], a[116:117], v[16:17], v[104:107]// 000000008780: D3F30068 0DA22174
	v_mfma_f32_16x16x32_fp8_fp8 v[100:103], a[102:103], v[18:19], v[100:103]// 000000008788: D3F30064 0D922566
	buffer_load_dwordx4 a[132:135], v234, s[16:19], 0 offen    // 000000008790: E05C1000 808484EA
	v_mfma_f32_16x16x32_fp8_fp8 v[104:107], a[118:119], v[18:19], v[104:107]// 000000008798: D3F30068 0DA22576
	s_waitcnt lgkmcnt(7)                                       // 0000000087A0: BF8CC77F
	v_mfma_f32_16x16x32_fp8_fp8 v[108:111], a[88:89], v[20:21], 0// 0000000087A4: D3F3006C 0A022958
	v_mfma_f32_16x16x32_fp8_fp8 v[112:115], a[104:105], v[20:21], 0// 0000000087AC: D3F30070 0A022968
	v_mfma_f32_16x16x32_fp8_fp8 v[108:111], a[90:91], v[22:23], v[108:111]// 0000000087B4: D3F3006C 0DB22D5A
	buffer_load_dwordx4 a[136:139], v231, s[16:19], 0 offen offset:1024// 0000000087BC: E05C1400 808488E7
	v_mfma_f32_16x16x32_fp8_fp8 v[112:115], a[106:107], v[22:23], v[112:115]// 0000000087C4: D3F30070 0DC22D6A
	s_waitcnt lgkmcnt(6)                                       // 0000000087CC: BF8CC67F
	v_mfma_f32_16x16x32_fp8_fp8 v[108:111], a[92:93], v[24:25], v[108:111]// 0000000087D0: D3F3006C 0DB2315C
	v_mfma_f32_16x16x32_fp8_fp8 v[112:115], a[108:109], v[24:25], v[112:115]// 0000000087D8: D3F30070 0DC2316C
	v_mfma_f32_16x16x32_fp8_fp8 v[108:111], a[94:95], v[26:27], v[108:111]// 0000000087E0: D3F3006C 0DB2355E
	buffer_load_dwordx4 a[140:143], v232, s[16:19], 0 offen offset:1024// 0000000087E8: E05C1400 80848CE8
	v_mfma_f32_16x16x32_fp8_fp8 v[112:115], a[110:111], v[26:27], v[112:115]// 0000000087F0: D3F30070 0DC2356E
	s_waitcnt lgkmcnt(5)                                       // 0000000087F8: BF8CC57F
	v_mfma_f32_16x16x32_fp8_fp8 v[108:111], a[96:97], v[28:29], v[108:111]// 0000000087FC: D3F3006C 0DB23960
	v_mfma_f32_16x16x32_fp8_fp8 v[112:115], a[112:113], v[28:29], v[112:115]// 000000008804: D3F30070 0DC23970
	v_mfma_f32_16x16x32_fp8_fp8 v[108:111], a[98:99], v[30:31], v[108:111]// 00000000880C: D3F3006C 0DB23D62
	buffer_load_dwordx4 a[144:147], v233, s[16:19], 0 offen offset:1024// 000000008814: E05C1400 808490E9
	v_mfma_f32_16x16x32_fp8_fp8 v[112:115], a[114:115], v[30:31], v[112:115]// 00000000881C: D3F30070 0DC23D72
	s_waitcnt lgkmcnt(4)                                       // 000000008824: BF8CC47F
	v_mfma_f32_16x16x32_fp8_fp8 v[108:111], a[100:101], v[32:33], v[108:111]// 000000008828: D3F3006C 0DB24164
	v_mfma_f32_16x16x32_fp8_fp8 v[112:115], a[116:117], v[32:33], v[112:115]// 000000008830: D3F30070 0DC24174
	v_mfma_f32_16x16x32_fp8_fp8 v[108:111], a[102:103], v[34:35], v[108:111]// 000000008838: D3F3006C 0DB24566
	buffer_load_dwordx4 a[148:151], v234, s[16:19], 0 offen offset:1024// 000000008840: E05C1400 808494EA
	v_mfma_f32_16x16x32_fp8_fp8 v[112:115], a[118:119], v[34:35], v[112:115]// 000000008848: D3F30070 0DC24576
	s_waitcnt lgkmcnt(3)                                       // 000000008850: BF8CC37F
	v_mfma_f32_16x16x32_fp8_fp8 v[116:119], a[88:89], v[36:37], 0// 000000008854: D3F30074 0A024958
	v_mfma_f32_16x16x32_fp8_fp8 v[120:123], a[104:105], v[36:37], 0// 00000000885C: D3F30078 0A024968
	v_mfma_f32_16x16x32_fp8_fp8 v[116:119], a[90:91], v[38:39], v[116:119]// 000000008864: D3F30074 0DD24D5A
	v_mfma_f32_16x16x32_fp8_fp8 v[120:123], a[106:107], v[38:39], v[120:123]// 00000000886C: D3F30078 0DE24D6A
	s_waitcnt lgkmcnt(2)                                       // 000000008874: BF8CC27F
	v_mfma_f32_16x16x32_fp8_fp8 v[116:119], a[92:93], v[40:41], v[116:119]// 000000008878: D3F30074 0DD2515C
	v_mfma_f32_16x16x32_fp8_fp8 v[120:123], a[108:109], v[40:41], v[120:123]// 000000008880: D3F30078 0DE2516C
	v_mfma_f32_16x16x32_fp8_fp8 v[116:119], a[94:95], v[42:43], v[116:119]// 000000008888: D3F30074 0DD2555E
	v_mfma_f32_16x16x32_fp8_fp8 v[120:123], a[110:111], v[42:43], v[120:123]// 000000008890: D3F30078 0DE2556E
	s_waitcnt lgkmcnt(1)                                       // 000000008898: BF8CC17F
	v_mfma_f32_16x16x32_fp8_fp8 v[116:119], a[96:97], v[44:45], v[116:119]// 00000000889C: D3F30074 0DD25960
	v_mfma_f32_16x16x32_fp8_fp8 v[120:123], a[112:113], v[44:45], v[120:123]// 0000000088A4: D3F30078 0DE25970
	v_mfma_f32_16x16x32_fp8_fp8 v[116:119], a[98:99], v[46:47], v[116:119]// 0000000088AC: D3F30074 0DD25D62
	v_mfma_f32_16x16x32_fp8_fp8 v[120:123], a[114:115], v[46:47], v[120:123]// 0000000088B4: D3F30078 0DE25D72
	s_waitcnt lgkmcnt(0)                                       // 0000000088BC: BF8CC07F
	v_mfma_f32_16x16x32_fp8_fp8 v[116:119], a[100:101], v[48:49], v[116:119]// 0000000088C0: D3F30074 0DD26164
	v_mfma_f32_16x16x32_fp8_fp8 v[120:123], a[116:117], v[48:49], v[120:123]// 0000000088C8: D3F30078 0DE26174
	v_mfma_f32_16x16x32_fp8_fp8 v[116:119], a[102:103], v[50:51], v[116:119]// 0000000088D0: D3F30074 0DD26566
	v_mfma_f32_16x16x32_fp8_fp8 v[120:123], a[118:119], v[50:51], v[120:123]// 0000000088D8: D3F30078 0DE26576
	s_load_dword s59, s[42:43], s68                            // 0000000088E0: C0000ED5 00000044
	s_addk_i32 s64, 0x100                                      // 0000000088E8: B7400100
	s_cmp_lt_i32 s64, s63                                      // 0000000088EC: BF043F40
	s_cbranch_scc0 label_2C60                                  // 0000000088F0: BF8413A3
	s_waitcnt vmcnt(10)                                        // 0000000088F4: BF8C0F7A
	v_mfma_f32_16x16x32_fp8_fp8 v[4:7], a[56:57], a[0:1], 0    // 0000000088F8: D3F30004 1A020138
	s_add_u32 s12, s86, s69                                    // 000000008900: 800C4556
	s_addc_u32 s13, s87, 0                                     // 000000008904: 820D8057
	v_mfma_f32_16x16x32_fp8_fp8 v[4:7], a[58:59], a[2:3], v[4:7]// 000000008908: D3F30004 1C12053A
	s_add_u32 s16, s88, s70                                    // 000000008910: 80104658
	s_addc_u32 s17, s89, 0                                     // 000000008914: 82118059
	v_mfma_f32_16x16x32_fp8_fp8 v[4:7], a[60:61], a[4:5], v[4:7]// 000000008918: D3F30004 1C12093C
	buffer_load_dwordx4 a[24:27], v229, s[12:15], 0 offen      // 000000008920: E05C1000 808318E5
	v_mfma_f32_16x16x32_fp8_fp8 v[4:7], a[62:63], a[6:7], v[4:7]// 000000008928: D3F30004 1C120D3E
	s_add_u32 s20, s90, s71                                    // 000000008930: 8014475A
	s_addc_u32 s21, s91, 0                                     // 000000008934: 8215805B
	v_mfma_f32_16x16x32_fp8_fp8 v[8:11], a[64:65], a[0:1], 0   // 000000008938: D3F30008 1A020140
	s_add_u32 s24, s92, s71                                    // 000000008940: 8018475C
	s_addc_u32 s25, s93, 0                                     // 000000008944: 8219805D
	v_mfma_f32_16x16x32_fp8_fp8 v[8:11], a[66:67], a[2:3], v[8:11]// 000000008948: D3F30008 1C220542
	s_add_u32 s69, s69, 0x1000                                 // 000000008950: 8045FF45 00001000
	s_add_u32 s70, s70, 0x8000                                 // 000000008958: 8046FF46 00008000
	v_mfma_f32_16x16x32_fp8_fp8 v[8:11], a[68:69], a[4:5], v[8:11]// 000000008960: D3F30008 1C220944
	buffer_load_dwordx4 a[28:31], v230, s[12:15], 0 offen      // 000000008968: E05C1000 80831CE6
	v_mfma_f32_16x16x32_fp8_fp8 v[8:11], a[70:71], a[6:7], v[8:11]// 000000008970: D3F30008 1C220D46
	v_mfma_f32_16x16x32_fp8_fp8 v[12:15], a[72:73], a[0:1], 0  // 000000008978: D3F3000C 1A020148
	v_mfma_f32_16x16x32_fp8_fp8 v[12:15], a[74:75], a[2:3], v[12:15]// 000000008980: D3F3000C 1C32054A
	v_mfma_f32_16x16x32_fp8_fp8 v[12:15], a[76:77], a[4:5], v[12:15]// 000000008988: D3F3000C 1C32094C
	buffer_load_dwordx4 a[32:35], v229, s[12:15], 0 offen offset:1024// 000000008990: E05C1400 808320E5
	v_mfma_f32_16x16x32_fp8_fp8 v[12:15], a[78:79], a[6:7], v[12:15]// 000000008998: D3F3000C 1C320D4E
	v_mfma_f32_16x16x32_fp8_fp8 v[16:19], a[80:81], a[0:1], 0  // 0000000089A0: D3F30010 1A020150
	v_mfma_f32_16x16x32_fp8_fp8 v[16:19], a[82:83], a[2:3], v[16:19]// 0000000089A8: D3F30010 1C420552
	v_mfma_f32_16x16x32_fp8_fp8 v[16:19], a[84:85], a[4:5], v[16:19]// 0000000089B0: D3F30010 1C420954
	buffer_load_dwordx4 a[36:39], v230, s[12:15], 0 offen offset:1024// 0000000089B8: E05C1400 808324E6
	v_mfma_f32_16x16x32_fp8_fp8 v[16:19], a[86:87], a[6:7], v[16:19]// 0000000089C0: D3F30010 1C420D56
	v_mfma_f32_16x16x32_fp8_fp8 v[20:23], a[56:57], a[8:9], 0  // 0000000089C8: D3F30014 1A021138
	v_mfma_f32_16x16x32_fp8_fp8 v[20:23], a[58:59], a[10:11], v[20:23]// 0000000089D0: D3F30014 1C52153A
	v_mfma_f32_16x16x32_fp8_fp8 v[20:23], a[60:61], a[12:13], v[20:23]// 0000000089D8: D3F30014 1C52193C
	buffer_load_dwordx4 a[40:43], v229, s[12:15], 0 offen offset:2048// 0000000089E0: E05C1800 808328E5
	v_mfma_f32_16x16x32_fp8_fp8 v[20:23], a[62:63], a[14:15], v[20:23]// 0000000089E8: D3F30014 1C521D3E
	v_mfma_f32_16x16x32_fp8_fp8 v[24:27], a[64:65], a[8:9], 0  // 0000000089F0: D3F30018 1A021140
	v_mfma_f32_16x16x32_fp8_fp8 v[24:27], a[66:67], a[10:11], v[24:27]// 0000000089F8: D3F30018 1C621542
	v_mfma_f32_16x16x32_fp8_fp8 v[24:27], a[68:69], a[12:13], v[24:27]// 000000008A00: D3F30018 1C621944
	buffer_load_dwordx4 a[44:47], v230, s[12:15], 0 offen offset:2048// 000000008A08: E05C1800 80832CE6
	v_mfma_f32_16x16x32_fp8_fp8 v[24:27], a[70:71], a[14:15], v[24:27]// 000000008A10: D3F30018 1C621D46
	v_mfma_f32_16x16x32_fp8_fp8 v[28:31], a[72:73], a[8:9], 0  // 000000008A18: D3F3001C 1A021148
	v_mfma_f32_16x16x32_fp8_fp8 v[28:31], a[74:75], a[10:11], v[28:31]// 000000008A20: D3F3001C 1C72154A
	v_mfma_f32_16x16x32_fp8_fp8 v[28:31], a[76:77], a[12:13], v[28:31]// 000000008A28: D3F3001C 1C72194C
	buffer_load_dwordx4 a[48:51], v229, s[12:15], 0 offen offset:3072// 000000008A30: E05C1C00 808330E5
	v_mfma_f32_16x16x32_fp8_fp8 v[28:31], a[78:79], a[14:15], v[28:31]// 000000008A38: D3F3001C 1C721D4E
	v_mfma_f32_16x16x32_fp8_fp8 v[32:35], a[80:81], a[8:9], 0  // 000000008A40: D3F30020 1A021150
	v_mfma_f32_16x16x32_fp8_fp8 v[32:35], a[82:83], a[10:11], v[32:35]// 000000008A48: D3F30020 1C821552
	v_mfma_f32_16x16x32_fp8_fp8 v[32:35], a[84:85], a[12:13], v[32:35]// 000000008A50: D3F30020 1C821954
	buffer_load_dwordx4 a[52:55], v230, s[12:15], 0 offen offset:3072// 000000008A58: E05C1C00 808334E6
	v_mfma_f32_16x16x32_fp8_fp8 v[32:35], a[86:87], a[14:15], v[32:35]// 000000008A60: D3F30020 1C821D56
	v_mfma_f32_16x16x32_fp8_fp8 v[36:39], a[56:57], a[16:17], 0// 000000008A68: D3F30024 1A022138
	v_mfma_f32_16x16x32_fp8_fp8 v[36:39], a[58:59], a[18:19], v[36:39]// 000000008A70: D3F30024 1C92253A
	v_mfma_f32_16x16x32_fp8_fp8 v[36:39], a[60:61], a[20:21], v[36:39]// 000000008A78: D3F30024 1C92293C
	v_mfma_f32_16x16x32_fp8_fp8 v[36:39], a[62:63], a[22:23], v[36:39]// 000000008A80: D3F30024 1C922D3E
	v_mfma_f32_16x16x32_fp8_fp8 v[40:43], a[64:65], a[16:17], 0// 000000008A88: D3F30028 1A022140
	v_mfma_f32_16x16x32_fp8_fp8 v[40:43], a[66:67], a[18:19], v[40:43]// 000000008A90: D3F30028 1CA22542
	v_mfma_f32_16x16x32_fp8_fp8 v[40:43], a[68:69], a[20:21], v[40:43]// 000000008A98: D3F30028 1CA22944
	v_mfma_f32_16x16x32_fp8_fp8 v[40:43], a[70:71], a[22:23], v[40:43]// 000000008AA0: D3F30028 1CA22D46
	v_mfma_f32_16x16x32_fp8_fp8 v[44:47], a[72:73], a[16:17], 0// 000000008AA8: D3F3002C 1A022148
	v_mfma_f32_16x16x32_fp8_fp8 v[44:47], a[74:75], a[18:19], v[44:47]// 000000008AB0: D3F3002C 1CB2254A
	v_mfma_f32_16x16x32_fp8_fp8 v[44:47], a[76:77], a[20:21], v[44:47]// 000000008AB8: D3F3002C 1CB2294C
	v_mfma_f32_16x16x32_fp8_fp8 v[44:47], a[78:79], a[22:23], v[44:47]// 000000008AC0: D3F3002C 1CB22D4E
	v_mfma_f32_16x16x32_fp8_fp8 v[48:51], a[80:81], a[16:17], 0// 000000008AC8: D3F30030 1A022150
	v_mfma_f32_16x16x32_fp8_fp8 v[48:51], a[82:83], a[18:19], v[48:51]// 000000008AD0: D3F30030 1CC22552
	v_mfma_f32_16x16x32_fp8_fp8 v[48:51], a[84:85], a[20:21], v[48:51]// 000000008AD8: D3F30030 1CC22954
	v_mfma_f32_16x16x32_fp8_fp8 v[48:51], a[86:87], a[22:23], v[48:51]// 000000008AE0: D3F30030 1CC22D56
	s_waitcnt vmcnt(16)                                        // 000000008AE8: BF8C4F70
	v_pk_mul_f32 v[4:5], v[148:149], v[4:5]                    // 000000008AEC: D3B14004 18020994
	v_pk_mul_f32 v[6:7], v[148:149], v[6:7]                    // 000000008AF4: D3B14006 18020D94
	v_mul_f32_dpp v4, v155, v4 row_newbcast:0 row_mask:0xf bank_mask:0xf// 000000008AFC: 0A0808FA FF01509B
	v_mul_f32_dpp v5, v155, v5 row_newbcast:1 row_mask:0xf bank_mask:0xf// 000000008B04: 0A0A0AFA FF01519B
	v_mul_f32_dpp v6, v155, v6 row_newbcast:2 row_mask:0xf bank_mask:0xf// 000000008B0C: 0A0C0CFA FF01529B
	v_mul_f32_dpp v7, v155, v7 row_newbcast:3 row_mask:0xf bank_mask:0xf// 000000008B14: 0A0E0EFA FF01539B
	v_pk_mul_f32 v[8:9], v[148:149], v[8:9]                    // 000000008B1C: D3B14008 18021194
	v_pk_mul_f32 v[10:11], v[148:149], v[10:11]                // 000000008B24: D3B1400A 18021594
	v_mul_f32_dpp v8, v155, v8 row_newbcast:4 row_mask:0xf bank_mask:0xf// 000000008B2C: 0A1010FA FF01549B
	v_mul_f32_dpp v9, v155, v9 row_newbcast:5 row_mask:0xf bank_mask:0xf// 000000008B34: 0A1212FA FF01559B
	v_mul_f32_dpp v10, v155, v10 row_newbcast:6 row_mask:0xf bank_mask:0xf// 000000008B3C: 0A1414FA FF01569B
	v_mul_f32_dpp v11, v155, v11 row_newbcast:7 row_mask:0xf bank_mask:0xf// 000000008B44: 0A1616FA FF01579B
	v_pk_mul_f32 v[12:13], v[148:149], v[12:13]                // 000000008B4C: D3B1400C 18021994
	v_pk_mul_f32 v[14:15], v[148:149], v[14:15]                // 000000008B54: D3B1400E 18021D94
	v_mul_f32_dpp v12, v155, v12 row_newbcast:8 row_mask:0xf bank_mask:0xf// 000000008B5C: 0A1818FA FF01589B
	v_mul_f32_dpp v13, v155, v13 row_newbcast:9 row_mask:0xf bank_mask:0xf// 000000008B64: 0A1A1AFA FF01599B
	v_mul_f32_dpp v14, v155, v14 row_newbcast:10 row_mask:0xf bank_mask:0xf// 000000008B6C: 0A1C1CFA FF015A9B
	v_mul_f32_dpp v15, v155, v15 row_newbcast:11 row_mask:0xf bank_mask:0xf// 000000008B74: 0A1E1EFA FF015B9B
	v_pk_mul_f32 v[16:17], v[148:149], v[16:17]                // 000000008B7C: D3B14010 18022194
	v_pk_mul_f32 v[18:19], v[148:149], v[18:19]                // 000000008B84: D3B14012 18022594
	v_mul_f32_dpp v16, v155, v16 row_newbcast:12 row_mask:0xf bank_mask:0xf// 000000008B8C: 0A2020FA FF015C9B
	v_mul_f32_dpp v17, v155, v17 row_newbcast:13 row_mask:0xf bank_mask:0xf// 000000008B94: 0A2222FA FF015D9B
	v_mul_f32_dpp v18, v155, v18 row_newbcast:14 row_mask:0xf bank_mask:0xf// 000000008B9C: 0A2424FA FF015E9B
	v_mul_f32_dpp v19, v155, v19 row_newbcast:15 row_mask:0xf bank_mask:0xf// 000000008BA4: 0A2626FA FF015F9B
	v_pk_mul_f32 v[20:21], v[150:151], v[20:21]                // 000000008BAC: D3B14014 18022996
	v_pk_mul_f32 v[22:23], v[150:151], v[22:23]                // 000000008BB4: D3B14016 18022D96
	v_mul_f32_dpp v20, v155, v20 row_newbcast:0 row_mask:0xf bank_mask:0xf// 000000008BBC: 0A2828FA FF01509B
	v_mul_f32_dpp v21, v155, v21 row_newbcast:1 row_mask:0xf bank_mask:0xf// 000000008BC4: 0A2A2AFA FF01519B
	v_mul_f32_dpp v22, v155, v22 row_newbcast:2 row_mask:0xf bank_mask:0xf// 000000008BCC: 0A2C2CFA FF01529B
	v_mul_f32_dpp v23, v155, v23 row_newbcast:3 row_mask:0xf bank_mask:0xf// 000000008BD4: 0A2E2EFA FF01539B
	v_pk_mul_f32 v[24:25], v[150:151], v[24:25]                // 000000008BDC: D3B14018 18023196
	v_pk_mul_f32 v[26:27], v[150:151], v[26:27]                // 000000008BE4: D3B1401A 18023596
	v_mul_f32_dpp v24, v155, v24 row_newbcast:4 row_mask:0xf bank_mask:0xf// 000000008BEC: 0A3030FA FF01549B
	v_mul_f32_dpp v25, v155, v25 row_newbcast:5 row_mask:0xf bank_mask:0xf// 000000008BF4: 0A3232FA FF01559B
	v_mul_f32_dpp v26, v155, v26 row_newbcast:6 row_mask:0xf bank_mask:0xf// 000000008BFC: 0A3434FA FF01569B
	v_mul_f32_dpp v27, v155, v27 row_newbcast:7 row_mask:0xf bank_mask:0xf// 000000008C04: 0A3636FA FF01579B
	v_pk_mul_f32 v[28:29], v[150:151], v[28:29]                // 000000008C0C: D3B1401C 18023996
	v_pk_mul_f32 v[30:31], v[150:151], v[30:31]                // 000000008C14: D3B1401E 18023D96
	v_mul_f32_dpp v28, v155, v28 row_newbcast:8 row_mask:0xf bank_mask:0xf// 000000008C1C: 0A3838FA FF01589B
	v_mul_f32_dpp v29, v155, v29 row_newbcast:9 row_mask:0xf bank_mask:0xf// 000000008C24: 0A3A3AFA FF01599B
	v_mul_f32_dpp v30, v155, v30 row_newbcast:10 row_mask:0xf bank_mask:0xf// 000000008C2C: 0A3C3CFA FF015A9B
	v_mul_f32_dpp v31, v155, v31 row_newbcast:11 row_mask:0xf bank_mask:0xf// 000000008C34: 0A3E3EFA FF015B9B
	v_pk_mul_f32 v[32:33], v[150:151], v[32:33]                // 000000008C3C: D3B14020 18024196
	v_pk_mul_f32 v[34:35], v[150:151], v[34:35]                // 000000008C44: D3B14022 18024596
	v_mul_f32_dpp v32, v155, v32 row_newbcast:12 row_mask:0xf bank_mask:0xf// 000000008C4C: 0A4040FA FF015C9B
	v_mul_f32_dpp v33, v155, v33 row_newbcast:13 row_mask:0xf bank_mask:0xf// 000000008C54: 0A4242FA FF015D9B
	v_mul_f32_dpp v34, v155, v34 row_newbcast:14 row_mask:0xf bank_mask:0xf// 000000008C5C: 0A4444FA FF015E9B
	v_mul_f32_dpp v35, v155, v35 row_newbcast:15 row_mask:0xf bank_mask:0xf// 000000008C64: 0A4646FA FF015F9B
	v_pk_mul_f32 v[36:37], v[152:153], v[36:37]                // 000000008C6C: D3B14024 18024998
	v_pk_mul_f32 v[38:39], v[152:153], v[38:39]                // 000000008C74: D3B14026 18024D98
	v_mul_f32_dpp v36, v155, v36 row_newbcast:0 row_mask:0xf bank_mask:0xf// 000000008C7C: 0A4848FA FF01509B
	v_mul_f32_dpp v37, v155, v37 row_newbcast:1 row_mask:0xf bank_mask:0xf// 000000008C84: 0A4A4AFA FF01519B
	v_mul_f32_dpp v38, v155, v38 row_newbcast:2 row_mask:0xf bank_mask:0xf// 000000008C8C: 0A4C4CFA FF01529B
	v_mul_f32_dpp v39, v155, v39 row_newbcast:3 row_mask:0xf bank_mask:0xf// 000000008C94: 0A4E4EFA FF01539B
	v_pk_mul_f32 v[40:41], v[152:153], v[40:41]                // 000000008C9C: D3B14028 18025198
	v_pk_mul_f32 v[42:43], v[152:153], v[42:43]                // 000000008CA4: D3B1402A 18025598
	v_mul_f32_dpp v40, v155, v40 row_newbcast:4 row_mask:0xf bank_mask:0xf// 000000008CAC: 0A5050FA FF01549B
	v_mul_f32_dpp v41, v155, v41 row_newbcast:5 row_mask:0xf bank_mask:0xf// 000000008CB4: 0A5252FA FF01559B
	v_mul_f32_dpp v42, v155, v42 row_newbcast:6 row_mask:0xf bank_mask:0xf// 000000008CBC: 0A5454FA FF01569B
	v_mul_f32_dpp v43, v155, v43 row_newbcast:7 row_mask:0xf bank_mask:0xf// 000000008CC4: 0A5656FA FF01579B
	v_pk_mul_f32 v[44:45], v[152:153], v[44:45]                // 000000008CCC: D3B1402C 18025998
	v_pk_mul_f32 v[46:47], v[152:153], v[46:47]                // 000000008CD4: D3B1402E 18025D98
	v_mul_f32_dpp v44, v155, v44 row_newbcast:8 row_mask:0xf bank_mask:0xf// 000000008CDC: 0A5858FA FF01589B
	v_mul_f32_dpp v45, v155, v45 row_newbcast:9 row_mask:0xf bank_mask:0xf// 000000008CE4: 0A5A5AFA FF01599B
	v_mul_f32_dpp v46, v155, v46 row_newbcast:10 row_mask:0xf bank_mask:0xf// 000000008CEC: 0A5C5CFA FF015A9B
	v_mul_f32_dpp v47, v155, v47 row_newbcast:11 row_mask:0xf bank_mask:0xf// 000000008CF4: 0A5E5EFA FF015B9B
	v_pk_mul_f32 v[48:49], v[152:153], v[48:49]                // 000000008CFC: D3B14030 18026198
	v_pk_mul_f32 v[50:51], v[152:153], v[50:51]                // 000000008D04: D3B14032 18026598
	v_mul_f32_dpp v48, v155, v48 row_newbcast:12 row_mask:0xf bank_mask:0xf// 000000008D0C: 0A6060FA FF015C9B
	v_mul_f32_dpp v49, v155, v49 row_newbcast:13 row_mask:0xf bank_mask:0xf// 000000008D14: 0A6262FA FF015D9B
	v_mul_f32_dpp v50, v155, v50 row_newbcast:14 row_mask:0xf bank_mask:0xf// 000000008D1C: 0A6464FA FF015E9B
	v_mul_f32_dpp v51, v155, v51 row_newbcast:15 row_mask:0xf bank_mask:0xf// 000000008D24: 0A6666FA FF015F9B
	v_mov_b32_e32 v182, v4                                     // 000000008D2C: 7F6C0304
	v_max3_f32 v182, v4, v5, v182                              // 000000008D30: D1D300B6 06DA0B04
	v_max3_f32 v182, v6, v7, v182                              // 000000008D38: D1D300B6 06DA0F06
	v_max3_f32 v182, v8, v9, v182                              // 000000008D40: D1D300B6 06DA1308
	v_max3_f32 v182, v10, v11, v182                            // 000000008D48: D1D300B6 06DA170A
	v_max3_f32 v182, v12, v13, v182                            // 000000008D50: D1D300B6 06DA1B0C
	v_max3_f32 v182, v14, v15, v182                            // 000000008D58: D1D300B6 06DA1F0E
	v_max3_f32 v182, v16, v17, v182                            // 000000008D60: D1D300B6 06DA2310
	v_max3_f32 v182, v18, v19, v182                            // 000000008D68: D1D300B6 06DA2712
	v_mov_b32_e32 v183, v20                                    // 000000008D70: 7F6E0314
	v_max3_f32 v183, v20, v21, v183                            // 000000008D74: D1D300B7 06DE2B14
	v_max3_f32 v183, v22, v23, v183                            // 000000008D7C: D1D300B7 06DE2F16
	v_max3_f32 v183, v24, v25, v183                            // 000000008D84: D1D300B7 06DE3318
	v_max3_f32 v183, v26, v27, v183                            // 000000008D8C: D1D300B7 06DE371A
	v_max3_f32 v183, v28, v29, v183                            // 000000008D94: D1D300B7 06DE3B1C
	v_max3_f32 v183, v30, v31, v183                            // 000000008D9C: D1D300B7 06DE3F1E
	v_max3_f32 v183, v32, v33, v183                            // 000000008DA4: D1D300B7 06DE4320
	v_max3_f32 v183, v34, v35, v183                            // 000000008DAC: D1D300B7 06DE4722
	v_mov_b32_e32 v184, v36                                    // 000000008DB4: 7F700324
	v_max3_f32 v184, v36, v37, v184                            // 000000008DB8: D1D300B8 06E24B24
	v_max3_f32 v184, v38, v39, v184                            // 000000008DC0: D1D300B8 06E24F26
	v_max3_f32 v184, v40, v41, v184                            // 000000008DC8: D1D300B8 06E25328
	v_max3_f32 v184, v42, v43, v184                            // 000000008DD0: D1D300B8 06E2572A
	v_max3_f32 v184, v44, v45, v184                            // 000000008DD8: D1D300B8 06E25B2C
	v_max3_f32 v184, v46, v47, v184                            // 000000008DE0: D1D300B8 06E25F2E
	v_max3_f32 v184, v48, v49, v184                            // 000000008DE8: D1D300B8 06E26330
	v_max3_f32 v184, v50, v51, v184                            // 000000008DF0: D1D300B8 06E26732
	v_pk_mul_f32 v[124:125], v[170:171], v[124:125]            // 000000008DF8: D3B1407C 1802F9AA
	v_pk_mul_f32 v[126:127], v[170:171], v[126:127]            // 000000008E00: D3B1407E 1802FDAA
	v_pk_mul_f32 v[128:129], v[170:171], v[128:129]            // 000000008E08: D3B14080 180301AA
	v_pk_mul_f32 v[130:131], v[170:171], v[130:131]            // 000000008E10: D3B14082 180305AA
	v_pk_mul_f32 v[132:133], v[172:173], v[132:133]            // 000000008E18: D3B14084 180309AC
	v_pk_mul_f32 v[134:135], v[172:173], v[134:135]            // 000000008E20: D3B14086 18030DAC
	v_pk_mul_f32 v[136:137], v[172:173], v[136:137]            // 000000008E28: D3B14088 180311AC
	v_pk_mul_f32 v[138:139], v[172:173], v[138:139]            // 000000008E30: D3B1408A 180315AC
	v_pk_mul_f32 v[140:141], v[174:175], v[140:141]            // 000000008E38: D3B1408C 180319AE
	v_pk_mul_f32 v[142:143], v[174:175], v[142:143]            // 000000008E40: D3B1408E 18031DAE
	v_pk_mul_f32 v[144:145], v[174:175], v[144:145]            // 000000008E48: D3B14090 180321AE
	v_pk_mul_f32 v[146:147], v[174:175], v[146:147]            // 000000008E50: D3B14092 180325AE
	ds_bpermute_b32 v188, v208, v182                           // 000000008E58: D87E0000 BC00B6D0
	ds_bpermute_b32 v189, v209, v182                           // 000000008E60: D87E0000 BD00B6D1
	ds_bpermute_b32 v190, v210, v182                           // 000000008E68: D87E0000 BE00B6D2
	ds_bpermute_b32 v191, v208, v183                           // 000000008E70: D87E0000 BF00B7D0
	ds_bpermute_b32 v192, v209, v183                           // 000000008E78: D87E0000 C000B7D1
	ds_bpermute_b32 v193, v210, v183                           // 000000008E80: D87E0000 C100B7D2
	ds_bpermute_b32 v194, v208, v184                           // 000000008E88: D87E0000 C200B8D0
	ds_bpermute_b32 v195, v209, v184                           // 000000008E90: D87E0000 C300B8D1
	ds_bpermute_b32 v196, v210, v184                           // 000000008E98: D87E0000 C400B8D2
	s_waitcnt lgkmcnt(6)                                       // 000000008EA0: BF8CC67F
	v_max3_f32 v182, v188, v189, v182                          // 000000008EA4: D1D300B6 06DB7BBC
	v_max_f32_e32 v182, v190, v182                             // 000000008EAC: 176D6DBE
	s_waitcnt lgkmcnt(3)                                       // 000000008EB0: BF8CC37F
	v_max3_f32 v183, v191, v192, v183                          // 000000008EB4: D1D300B7 06DF81BF
	v_max_f32_e32 v183, v193, v183                             // 000000008EBC: 176F6FC1
	s_waitcnt lgkmcnt(0)                                       // 000000008EC0: BF8CC07F
	v_max3_f32 v184, v194, v195, v184                          // 000000008EC4: D1D300B8 06E387C2
	v_max_f32_e32 v184, v196, v184                             // 000000008ECC: 177171C4
	ds_write_b128 v249, v[182:185]                             // 000000008ED0: D9BE0000 0000B6F9
	s_waitcnt lgkmcnt(0)                                       // 000000008ED8: BF8CC07F
	s_barrier                                                  // 000000008EDC: BF8A0000
	v_pk_mul_f32 v[100:101], v[158:159], v[100:101]            // 000000008EE0: D3B14064 1802C99E
	v_pk_mul_f32 v[102:103], v[158:159], v[102:103]            // 000000008EE8: D3B14066 1802CD9E
	v_pk_mul_f32 v[104:105], v[158:159], v[104:105]            // 000000008EF0: D3B14068 1802D19E
	v_pk_mul_f32 v[106:107], v[158:159], v[106:107]            // 000000008EF8: D3B1406A 1802D59E
	v_pk_mul_f32 v[108:109], v[160:161], v[108:109]            // 000000008F00: D3B1406C 1802D9A0
	v_pk_mul_f32 v[110:111], v[160:161], v[110:111]            // 000000008F08: D3B1406E 1802DDA0
	v_pk_mul_f32 v[112:113], v[160:161], v[112:113]            // 000000008F10: D3B14070 1802E1A0
	v_pk_mul_f32 v[114:115], v[160:161], v[114:115]            // 000000008F18: D3B14072 1802E5A0
	v_pk_mul_f32 v[116:117], v[162:163], v[116:117]            // 000000008F20: D3B14074 1802E9A2
	v_pk_mul_f32 v[118:119], v[162:163], v[118:119]            // 000000008F28: D3B14076 1802EDA2
	v_pk_mul_f32 v[120:121], v[162:163], v[120:121]            // 000000008F30: D3B14078 1802F1A2
	v_pk_mul_f32 v[122:123], v[162:163], v[122:123]            // 000000008F38: D3B1407A 1802F5A2
	ds_read_b128 v[188:191], v250                              // 000000008F40: D9FE0000 BC0000FA
	ds_read_b128 v[192:195], v250 offset:256                   // 000000008F48: D9FE0100 C00000FA
	ds_read_b128 v[196:199], v250 offset:512                   // 000000008F50: D9FE0200 C40000FA
	ds_read_b128 v[200:203], v250 offset:768                   // 000000008F58: D9FE0300 C80000FA
	s_waitcnt lgkmcnt(0)                                       // 000000008F60: BF8CC07F
	v_max3_f32 v182, v188, v192, v182                          // 000000008F64: D1D300B6 06DB81BC
	v_max3_f32 v183, v189, v193, v183                          // 000000008F6C: D1D300B7 06DF83BD
	v_max3_f32 v184, v190, v194, v184                          // 000000008F74: D1D300B8 06E385BE
	v_max3_f32 v182, v196, v200, v182                          // 000000008F7C: D1D300B6 06DB91C4
	v_max3_f32 v183, v197, v201, v183                          // 000000008F84: D1D300B7 06DF93C5
	v_max3_f32 v184, v198, v202, v184                          // 000000008F8C: D1D300B8 06E395C6
	v_max_f32_e32 v167, v182, v164                             // 000000008F94: 174F49B6
	v_mul_f32_e64 v204, -s46, v167                             // 000000008F98: D10500CC 20034E2E
	v_mov_b32_e32 v205, v204                                   // 000000008FA0: 7F9A03CC
	v_pk_fma_f32 v[4:5], v[4:5], s[46:47], v[204:205]          // 000000008FA4: D3B04004 1F305D04
	v_pk_fma_f32 v[6:7], v[6:7], s[46:47], v[204:205]          // 000000008FAC: D3B04006 1F305D06
	v_exp_f32_e32 v4, v4                                       // 000000008FB4: 7E084104
	v_exp_f32_e32 v5, v5                                       // 000000008FB8: 7E0A4105
	v_exp_f32_e32 v6, v6                                       // 000000008FBC: 7E0C4106
	v_exp_f32_e32 v7, v7                                       // 000000008FC0: 7E0E4107
	v_pk_fma_f32 v[8:9], v[8:9], s[46:47], v[204:205]          // 000000008FC4: D3B04008 1F305D08
	v_pk_fma_f32 v[10:11], v[10:11], s[46:47], v[204:205]      // 000000008FCC: D3B0400A 1F305D0A
	v_exp_f32_e32 v8, v8                                       // 000000008FD4: 7E104108
	v_exp_f32_e32 v9, v9                                       // 000000008FD8: 7E124109
	v_exp_f32_e32 v10, v10                                     // 000000008FDC: 7E14410A
	v_exp_f32_e32 v11, v11                                     // 000000008FE0: 7E16410B
	v_pk_fma_f32 v[12:13], v[12:13], s[46:47], v[204:205]      // 000000008FE4: D3B0400C 1F305D0C
	v_pk_fma_f32 v[14:15], v[14:15], s[46:47], v[204:205]      // 000000008FEC: D3B0400E 1F305D0E
	v_exp_f32_e32 v12, v12                                     // 000000008FF4: 7E18410C
	v_exp_f32_e32 v13, v13                                     // 000000008FF8: 7E1A410D
	v_exp_f32_e32 v14, v14                                     // 000000008FFC: 7E1C410E
	v_exp_f32_e32 v15, v15                                     // 000000009000: 7E1E410F
	v_pk_fma_f32 v[16:17], v[16:17], s[46:47], v[204:205]      // 000000009004: D3B04010 1F305D10
	v_pk_fma_f32 v[18:19], v[18:19], s[46:47], v[204:205]      // 00000000900C: D3B04012 1F305D12
	v_exp_f32_e32 v16, v16                                     // 000000009014: 7E204110
	v_exp_f32_e32 v17, v17                                     // 000000009018: 7E224111
	v_exp_f32_e32 v18, v18                                     // 00000000901C: 7E244112
	v_exp_f32_e32 v19, v19                                     // 000000009020: 7E264113
	v_max_f32_e32 v168, v183, v165                             // 000000009024: 17514BB7
	v_mul_f32_e64 v204, -s46, v168                             // 000000009028: D10500CC 2003502E
	v_mov_b32_e32 v205, v204                                   // 000000009030: 7F9A03CC
	v_pk_fma_f32 v[20:21], v[20:21], s[46:47], v[204:205]      // 000000009034: D3B04014 1F305D14
	v_pk_fma_f32 v[22:23], v[22:23], s[46:47], v[204:205]      // 00000000903C: D3B04016 1F305D16
	v_exp_f32_e32 v20, v20                                     // 000000009044: 7E284114
	v_exp_f32_e32 v21, v21                                     // 000000009048: 7E2A4115
	v_exp_f32_e32 v22, v22                                     // 00000000904C: 7E2C4116
	v_exp_f32_e32 v23, v23                                     // 000000009050: 7E2E4117
	v_pk_fma_f32 v[24:25], v[24:25], s[46:47], v[204:205]      // 000000009054: D3B04018 1F305D18
	v_pk_fma_f32 v[26:27], v[26:27], s[46:47], v[204:205]      // 00000000905C: D3B0401A 1F305D1A
	v_exp_f32_e32 v24, v24                                     // 000000009064: 7E304118
	v_exp_f32_e32 v25, v25                                     // 000000009068: 7E324119
	v_exp_f32_e32 v26, v26                                     // 00000000906C: 7E34411A
	v_exp_f32_e32 v27, v27                                     // 000000009070: 7E36411B
	v_pk_fma_f32 v[28:29], v[28:29], s[46:47], v[204:205]      // 000000009074: D3B0401C 1F305D1C
	v_pk_fma_f32 v[30:31], v[30:31], s[46:47], v[204:205]      // 00000000907C: D3B0401E 1F305D1E
	v_exp_f32_e32 v28, v28                                     // 000000009084: 7E38411C
	v_exp_f32_e32 v29, v29                                     // 000000009088: 7E3A411D
	v_exp_f32_e32 v30, v30                                     // 00000000908C: 7E3C411E
	v_exp_f32_e32 v31, v31                                     // 000000009090: 7E3E411F
	v_pk_fma_f32 v[32:33], v[32:33], s[46:47], v[204:205]      // 000000009094: D3B04020 1F305D20
	v_pk_fma_f32 v[34:35], v[34:35], s[46:47], v[204:205]      // 00000000909C: D3B04022 1F305D22
	v_exp_f32_e32 v32, v32                                     // 0000000090A4: 7E404120
	v_exp_f32_e32 v33, v33                                     // 0000000090A8: 7E424121
	v_exp_f32_e32 v34, v34                                     // 0000000090AC: 7E444122
	v_exp_f32_e32 v35, v35                                     // 0000000090B0: 7E464123
	v_max_f32_e32 v169, v184, v166                             // 0000000090B4: 17534DB8
	v_mul_f32_e64 v204, -s46, v169                             // 0000000090B8: D10500CC 2003522E
	v_mov_b32_e32 v205, v204                                   // 0000000090C0: 7F9A03CC
	v_pk_fma_f32 v[36:37], v[36:37], s[46:47], v[204:205]      // 0000000090C4: D3B04024 1F305D24
	v_pk_fma_f32 v[38:39], v[38:39], s[46:47], v[204:205]      // 0000000090CC: D3B04026 1F305D26
	v_exp_f32_e32 v36, v36                                     // 0000000090D4: 7E484124
	v_exp_f32_e32 v37, v37                                     // 0000000090D8: 7E4A4125
	v_exp_f32_e32 v38, v38                                     // 0000000090DC: 7E4C4126
	v_exp_f32_e32 v39, v39                                     // 0000000090E0: 7E4E4127
	v_pk_fma_f32 v[40:41], v[40:41], s[46:47], v[204:205]      // 0000000090E4: D3B04028 1F305D28
	v_pk_fma_f32 v[42:43], v[42:43], s[46:47], v[204:205]      // 0000000090EC: D3B0402A 1F305D2A
	v_exp_f32_e32 v40, v40                                     // 0000000090F4: 7E504128
	v_exp_f32_e32 v41, v41                                     // 0000000090F8: 7E524129
	v_exp_f32_e32 v42, v42                                     // 0000000090FC: 7E54412A
	v_exp_f32_e32 v43, v43                                     // 000000009100: 7E56412B
	v_pk_fma_f32 v[44:45], v[44:45], s[46:47], v[204:205]      // 000000009104: D3B0402C 1F305D2C
	v_pk_fma_f32 v[46:47], v[46:47], s[46:47], v[204:205]      // 00000000910C: D3B0402E 1F305D2E
	v_exp_f32_e32 v44, v44                                     // 000000009114: 7E58412C
	v_exp_f32_e32 v45, v45                                     // 000000009118: 7E5A412D
	v_exp_f32_e32 v46, v46                                     // 00000000911C: 7E5C412E
	v_exp_f32_e32 v47, v47                                     // 000000009120: 7E5E412F
	v_pk_fma_f32 v[48:49], v[48:49], s[46:47], v[204:205]      // 000000009124: D3B04030 1F305D30
	v_pk_fma_f32 v[50:51], v[50:51], s[46:47], v[204:205]      // 00000000912C: D3B04032 1F305D32
	v_exp_f32_e32 v48, v48                                     // 000000009134: 7E604130
	v_exp_f32_e32 v49, v49                                     // 000000009138: 7E624131
	v_exp_f32_e32 v50, v50                                     // 00000000913C: 7E644132
	v_exp_f32_e32 v51, v51                                     // 000000009140: 7E664133
	v_mul_f32_dpp v52, v157, v4 row_newbcast:0 row_mask:0xf bank_mask:0xf// 000000009144: 0A6808FA FF01509D
	v_mul_f32_dpp v53, v157, v5 row_newbcast:1 row_mask:0xf bank_mask:0xf// 00000000914C: 0A6A0AFA FF01519D
	v_mul_f32_dpp v54, v157, v6 row_newbcast:2 row_mask:0xf bank_mask:0xf// 000000009154: 0A6C0CFA FF01529D
	v_mul_f32_dpp v55, v157, v7 row_newbcast:3 row_mask:0xf bank_mask:0xf// 00000000915C: 0A6E0EFA FF01539D
	v_mul_f32_dpp v56, v157, v8 row_newbcast:4 row_mask:0xf bank_mask:0xf// 000000009164: 0A7010FA FF01549D
	v_mul_f32_dpp v57, v157, v9 row_newbcast:5 row_mask:0xf bank_mask:0xf// 00000000916C: 0A7212FA FF01559D
	v_mul_f32_dpp v58, v157, v10 row_newbcast:6 row_mask:0xf bank_mask:0xf// 000000009174: 0A7414FA FF01569D
	v_mul_f32_dpp v59, v157, v11 row_newbcast:7 row_mask:0xf bank_mask:0xf// 00000000917C: 0A7616FA FF01579D
	v_mul_f32_dpp v60, v157, v12 row_newbcast:8 row_mask:0xf bank_mask:0xf// 000000009184: 0A7818FA FF01589D
	v_mul_f32_dpp v61, v157, v13 row_newbcast:9 row_mask:0xf bank_mask:0xf// 00000000918C: 0A7A1AFA FF01599D
	v_mul_f32_dpp v62, v157, v14 row_newbcast:10 row_mask:0xf bank_mask:0xf// 000000009194: 0A7C1CFA FF015A9D
	v_mul_f32_dpp v63, v157, v15 row_newbcast:11 row_mask:0xf bank_mask:0xf// 00000000919C: 0A7E1EFA FF015B9D
	v_mul_f32_dpp v64, v157, v16 row_newbcast:12 row_mask:0xf bank_mask:0xf// 0000000091A4: 0A8020FA FF015C9D
	v_mul_f32_dpp v65, v157, v17 row_newbcast:13 row_mask:0xf bank_mask:0xf// 0000000091AC: 0A8222FA FF015D9D
	v_mul_f32_dpp v66, v157, v18 row_newbcast:14 row_mask:0xf bank_mask:0xf// 0000000091B4: 0A8424FA FF015E9D
	v_mul_f32_dpp v67, v157, v19 row_newbcast:15 row_mask:0xf bank_mask:0xf// 0000000091BC: 0A8626FA FF015F9D
	v_mul_f32_dpp v68, v157, v20 row_newbcast:0 row_mask:0xf bank_mask:0xf// 0000000091C4: 0A8828FA FF01509D
	v_mul_f32_dpp v69, v157, v21 row_newbcast:1 row_mask:0xf bank_mask:0xf// 0000000091CC: 0A8A2AFA FF01519D
	v_mul_f32_dpp v70, v157, v22 row_newbcast:2 row_mask:0xf bank_mask:0xf// 0000000091D4: 0A8C2CFA FF01529D
	v_mul_f32_dpp v71, v157, v23 row_newbcast:3 row_mask:0xf bank_mask:0xf// 0000000091DC: 0A8E2EFA FF01539D
	v_mul_f32_dpp v72, v157, v24 row_newbcast:4 row_mask:0xf bank_mask:0xf// 0000000091E4: 0A9030FA FF01549D
	v_mul_f32_dpp v73, v157, v25 row_newbcast:5 row_mask:0xf bank_mask:0xf// 0000000091EC: 0A9232FA FF01559D
	v_mul_f32_dpp v74, v157, v26 row_newbcast:6 row_mask:0xf bank_mask:0xf// 0000000091F4: 0A9434FA FF01569D
	v_mul_f32_dpp v75, v157, v27 row_newbcast:7 row_mask:0xf bank_mask:0xf// 0000000091FC: 0A9636FA FF01579D
	v_mul_f32_dpp v76, v157, v28 row_newbcast:8 row_mask:0xf bank_mask:0xf// 000000009204: 0A9838FA FF01589D
	v_mul_f32_dpp v77, v157, v29 row_newbcast:9 row_mask:0xf bank_mask:0xf// 00000000920C: 0A9A3AFA FF01599D
	v_mul_f32_dpp v78, v157, v30 row_newbcast:10 row_mask:0xf bank_mask:0xf// 000000009214: 0A9C3CFA FF015A9D
	v_mul_f32_dpp v79, v157, v31 row_newbcast:11 row_mask:0xf bank_mask:0xf// 00000000921C: 0A9E3EFA FF015B9D
	v_mul_f32_dpp v80, v157, v32 row_newbcast:12 row_mask:0xf bank_mask:0xf// 000000009224: 0AA040FA FF015C9D
	v_mul_f32_dpp v81, v157, v33 row_newbcast:13 row_mask:0xf bank_mask:0xf// 00000000922C: 0AA242FA FF015D9D
	v_mul_f32_dpp v82, v157, v34 row_newbcast:14 row_mask:0xf bank_mask:0xf// 000000009234: 0AA444FA FF015E9D
	v_mul_f32_dpp v83, v157, v35 row_newbcast:15 row_mask:0xf bank_mask:0xf// 00000000923C: 0AA646FA FF015F9D
	v_mul_f32_dpp v84, v157, v36 row_newbcast:0 row_mask:0xf bank_mask:0xf// 000000009244: 0AA848FA FF01509D
	v_mul_f32_dpp v85, v157, v37 row_newbcast:1 row_mask:0xf bank_mask:0xf// 00000000924C: 0AAA4AFA FF01519D
	v_mul_f32_dpp v86, v157, v38 row_newbcast:2 row_mask:0xf bank_mask:0xf// 000000009254: 0AAC4CFA FF01529D
	v_mul_f32_dpp v87, v157, v39 row_newbcast:3 row_mask:0xf bank_mask:0xf// 00000000925C: 0AAE4EFA FF01539D
	v_mul_f32_dpp v88, v157, v40 row_newbcast:4 row_mask:0xf bank_mask:0xf// 000000009264: 0AB050FA FF01549D
	v_mul_f32_dpp v89, v157, v41 row_newbcast:5 row_mask:0xf bank_mask:0xf// 00000000926C: 0AB252FA FF01559D
	v_mul_f32_dpp v90, v157, v42 row_newbcast:6 row_mask:0xf bank_mask:0xf// 000000009274: 0AB454FA FF01569D
	v_mul_f32_dpp v91, v157, v43 row_newbcast:7 row_mask:0xf bank_mask:0xf// 00000000927C: 0AB656FA FF01579D
	v_mul_f32_dpp v92, v157, v44 row_newbcast:8 row_mask:0xf bank_mask:0xf// 000000009284: 0AB858FA FF01589D
	v_mul_f32_dpp v93, v157, v45 row_newbcast:9 row_mask:0xf bank_mask:0xf// 00000000928C: 0ABA5AFA FF01599D
	v_mul_f32_dpp v94, v157, v46 row_newbcast:10 row_mask:0xf bank_mask:0xf// 000000009294: 0ABC5CFA FF015A9D
	v_mul_f32_dpp v95, v157, v47 row_newbcast:11 row_mask:0xf bank_mask:0xf// 00000000929C: 0ABE5EFA FF015B9D
	v_mul_f32_dpp v96, v157, v48 row_newbcast:12 row_mask:0xf bank_mask:0xf// 0000000092A4: 0AC060FA FF015C9D
	v_mul_f32_dpp v97, v157, v49 row_newbcast:13 row_mask:0xf bank_mask:0xf// 0000000092AC: 0AC262FA FF015D9D
	v_mul_f32_dpp v98, v157, v50 row_newbcast:14 row_mask:0xf bank_mask:0xf// 0000000092B4: 0AC464FA FF015E9D
	v_mul_f32_dpp v99, v157, v51 row_newbcast:15 row_mask:0xf bank_mask:0xf// 0000000092BC: 0AC666FA FF015F9D
	buffer_load_dword v154, v235, s[20:23], 0 offen            // 0000000092C4: E0501000 80059AEB
	v_sub_f32_e32 v170, v164, v167                             // 0000000092CC: 05554FA4
	v_cmp_eq_u32_e64 s[98:99], v222, v164                      // 0000000092D0: D0CA0062 000349DE
	v_cndmask_b32_e64 v170, v170, 0, s[98:99]                  // 0000000092D8: D10000AA 018901AA
	v_mov_b32_e32 v164, v167                                   // 0000000092E0: 7F4803A7
	v_mul_f32_e32 v170, s46, v170                              // 0000000092E4: 0B55542E
	v_exp_f32_e32 v170, v170                                   // 0000000092E8: 7F5441AA
	v_sub_f32_e32 v172, v165, v168                             // 0000000092EC: 055951A5
	v_cmp_eq_u32_e64 s[98:99], v222, v165                      // 0000000092F0: D0CA0062 00034BDE
	v_cndmask_b32_e64 v172, v172, 0, s[98:99]                  // 0000000092F8: D10000AC 018901AC
	v_mov_b32_e32 v165, v168                                   // 000000009300: 7F4A03A8
	v_mul_f32_e32 v172, s46, v172                              // 000000009304: 0B59582E
	v_exp_f32_e32 v172, v172                                   // 000000009308: 7F5841AC
	v_sub_f32_e32 v174, v166, v169                             // 00000000930C: 055D53A6
	v_cmp_eq_u32_e64 s[98:99], v222, v166                      // 000000009310: D0CA0062 00034DDE
	v_cndmask_b32_e64 v174, v174, 0, s[98:99]                  // 000000009318: D10000AE 018901AE
	v_mov_b32_e32 v166, v169                                   // 000000009320: 7F4C03A9
	v_mul_f32_e32 v174, s46, v174                              // 000000009324: 0B5D5C2E
	v_exp_f32_e32 v174, v174                                   // 000000009328: 7F5C41AE
	v_mov_b32_e32 v171, v170                                   // 00000000932C: 7F5603AA
	v_mov_b32_e32 v173, v172                                   // 000000009330: 7F5A03AC
	v_mov_b32_e32 v175, v174                                   // 000000009334: 7F5E03AE
	s_waitcnt lgkmcnt(0)                                       // 000000009338: BF8CC07F
	s_barrier                                                  // 00000000933C: BF8A0000
	buffer_load_dword v156, v236, s[24:27], 0 offen            // 000000009340: E0501000 80069CEC
	v_mul_f32_e32 v176, v170, v176                             // 000000009348: 0B6161AA
	v_mov_b32_e32 v177, 0                                      // 00000000934C: 7F620280
	v_pk_add_f32 v[176:177], v[4:5], v[176:177]                // 000000009350: D3B240B0 18036104
	v_pk_add_f32 v[176:177], v[6:7], v[176:177]                // 000000009358: D3B240B0 18036106
	;; [unrolled: 1-line block ×3, first 2 shown]
	v_pk_add_f32 v[176:177], v[10:11], v[176:177]              // 000000009368: D3B240B0 1803610A
	v_pk_add_f32 v[176:177], v[12:13], v[176:177]              // 000000009370: D3B240B0 1803610C
	v_pk_add_f32 v[176:177], v[14:15], v[176:177]              // 000000009378: D3B240B0 1803610E
	v_pk_add_f32 v[176:177], v[16:17], v[176:177]              // 000000009380: D3B240B0 18036110
	v_pk_add_f32 v[176:177], v[18:19], v[176:177]              // 000000009388: D3B240B0 18036112
	v_add_f32_e32 v176, v177, v176                             // 000000009390: 036161B1
	v_mul_f32_e32 v178, v172, v178                             // 000000009394: 0B6565AC
	v_mov_b32_e32 v179, 0                                      // 000000009398: 7F660280
	v_pk_add_f32 v[178:179], v[20:21], v[178:179]              // 00000000939C: D3B240B2 18036514
	v_pk_add_f32 v[178:179], v[22:23], v[178:179]              // 0000000093A4: D3B240B2 18036516
	v_pk_add_f32 v[178:179], v[24:25], v[178:179]              // 0000000093AC: D3B240B2 18036518
	v_pk_add_f32 v[178:179], v[26:27], v[178:179]              // 0000000093B4: D3B240B2 1803651A
	v_pk_add_f32 v[178:179], v[28:29], v[178:179]              // 0000000093BC: D3B240B2 1803651C
	v_pk_add_f32 v[178:179], v[30:31], v[178:179]              // 0000000093C4: D3B240B2 1803651E
	v_pk_add_f32 v[178:179], v[32:33], v[178:179]              // 0000000093CC: D3B240B2 18036520
	v_pk_add_f32 v[178:179], v[34:35], v[178:179]              // 0000000093D4: D3B240B2 18036522
	v_add_f32_e32 v178, v179, v178                             // 0000000093DC: 036565B3
	v_mul_f32_e32 v180, v174, v180                             // 0000000093E0: 0B6969AE
	v_mov_b32_e32 v181, 0                                      // 0000000093E4: 7F6A0280
	v_pk_add_f32 v[180:181], v[36:37], v[180:181]              // 0000000093E8: D3B240B4 18036924
	v_pk_add_f32 v[180:181], v[38:39], v[180:181]              // 0000000093F0: D3B240B4 18036926
	v_pk_add_f32 v[180:181], v[40:41], v[180:181]              // 0000000093F8: D3B240B4 18036928
	v_pk_add_f32 v[180:181], v[42:43], v[180:181]              // 000000009400: D3B240B4 1803692A
	v_pk_add_f32 v[180:181], v[44:45], v[180:181]              // 000000009408: D3B240B4 1803692C
	v_pk_add_f32 v[180:181], v[46:47], v[180:181]              // 000000009410: D3B240B4 1803692E
	v_pk_add_f32 v[180:181], v[48:49], v[180:181]              // 000000009418: D3B240B4 18036930
	v_pk_add_f32 v[180:181], v[50:51], v[180:181]              // 000000009420: D3B240B4 18036932
	v_add_f32_e32 v180, v181, v180                             // 000000009428: 036969B5
	s_waitcnt lgkmcnt(0)                                       // 00000000942C: BF8CC07F
	v_sub_f32_e32 v182, v182, v164                             // 000000009430: 056D49B6
	v_sub_f32_e32 v183, v183, v165                             // 000000009434: 056F4BB7
	v_sub_f32_e32 v184, v184, v166                             // 000000009438: 05714DB8
	v_mul_f32_e32 v182, s46, v182                              // 00000000943C: 0B6D6C2E
	v_mul_f32_e32 v183, s46, v183                              // 000000009440: 0B6F6E2E
	v_mul_f32_e32 v184, s46, v184                              // 000000009444: 0B71702E
	v_exp_f32_e32 v182, v182                                   // 000000009448: 7F6C41B6
	v_exp_f32_e32 v183, v183                                   // 00000000944C: 7F6E41B7
	v_exp_f32_e32 v184, v184                                   // 000000009450: 7F7041B8
	v_mul_f32_e32 v182, v157, v182                             // 000000009454: 0B6D6D9D
	v_mul_f32_e32 v183, v157, v183                             // 000000009458: 0B6F6F9D
	v_mul_f32_e32 v184, v157, v184                             // 00000000945C: 0B71719D
	v_add_f32_e32 v182, 0x3089705f, v182                       // 000000009460: 036D6CFF 3089705F
	v_add_f32_e32 v183, 0x3089705f, v183                       // 000000009468: 036F6EFF 3089705F
	v_add_f32_e32 v184, 0x3089705f, v184                       // 000000009470: 037170FF 3089705F
	v_rcp_f32_e32 v182, v182                                   // 000000009478: 7F6C45B6
	v_rcp_f32_e32 v183, v183                                   // 00000000947C: 7F6E45B7
	v_rcp_f32_e32 v184, v184                                   // 000000009480: 7F7045B8
	v_mul_f32_e32 v182, 0x43700000, v182                       // 000000009484: 0B6D6CFF 43700000
	v_mul_f32_e32 v183, 0x43700000, v183                       // 00000000948C: 0B6F6EFF 43700000
	v_mul_f32_e32 v184, 0x43700000, v184                       // 000000009494: 0B7170FF 43700000
	v_mov_b32_e32 v186, v184                                   // 00000000949C: 7F7403B8
	v_mov_b32_e32 v187, v184                                   // 0000000094A0: 7F7603B8
	v_mov_b32_e32 v184, v183                                   // 0000000094A4: 7F7003B7
	v_mov_b32_e32 v185, v183                                   // 0000000094A8: 7F7203B7
	v_mov_b32_e32 v183, v182                                   // 0000000094AC: 7F6E03B6
	v_pk_mul_f32 v[4:5], v[182:183], v[52:53]                  // 0000000094B0: D3B14004 180269B6
	v_pk_mul_f32 v[6:7], v[182:183], v[54:55]                  // 0000000094B8: D3B14006 18026DB6
	v_pk_mul_f32 v[8:9], v[182:183], v[56:57]                  // 0000000094C0: D3B14008 180271B6
	v_pk_mul_f32 v[10:11], v[182:183], v[58:59]                // 0000000094C8: D3B1400A 180275B6
	v_pk_mul_f32 v[12:13], v[182:183], v[60:61]                // 0000000094D0: D3B1400C 180279B6
	v_pk_mul_f32 v[14:15], v[182:183], v[62:63]                // 0000000094D8: D3B1400E 18027DB6
	v_pk_mul_f32 v[16:17], v[182:183], v[64:65]                // 0000000094E0: D3B14010 180281B6
	v_pk_mul_f32 v[18:19], v[182:183], v[66:67]                // 0000000094E8: D3B14012 180285B6
	v_pk_mul_f32 v[20:21], v[184:185], v[68:69]                // 0000000094F0: D3B14014 180289B8
	v_pk_mul_f32 v[22:23], v[184:185], v[70:71]                // 0000000094F8: D3B14016 18028DB8
	v_pk_mul_f32 v[24:25], v[184:185], v[72:73]                // 000000009500: D3B14018 180291B8
	v_pk_mul_f32 v[26:27], v[184:185], v[74:75]                // 000000009508: D3B1401A 180295B8
	v_pk_mul_f32 v[28:29], v[184:185], v[76:77]                // 000000009510: D3B1401C 180299B8
	v_pk_mul_f32 v[30:31], v[184:185], v[78:79]                // 000000009518: D3B1401E 18029DB8
	v_pk_mul_f32 v[32:33], v[184:185], v[80:81]                // 000000009520: D3B14020 1802A1B8
	v_pk_mul_f32 v[34:35], v[184:185], v[82:83]                // 000000009528: D3B14022 1802A5B8
	v_pk_mul_f32 v[36:37], v[186:187], v[84:85]                // 000000009530: D3B14024 1802A9BA
	v_pk_mul_f32 v[38:39], v[186:187], v[86:87]                // 000000009538: D3B14026 1802ADBA
	v_pk_mul_f32 v[40:41], v[186:187], v[88:89]                // 000000009540: D3B14028 1802B1BA
	v_pk_mul_f32 v[42:43], v[186:187], v[90:91]                // 000000009548: D3B1402A 1802B5BA
	v_pk_mul_f32 v[44:45], v[186:187], v[92:93]                // 000000009550: D3B1402C 1802B9BA
	v_pk_mul_f32 v[46:47], v[186:187], v[94:95]                // 000000009558: D3B1402E 1802BDBA
	v_pk_mul_f32 v[48:49], v[186:187], v[96:97]                // 000000009560: D3B14030 1802C1BA
	v_pk_mul_f32 v[50:51], v[186:187], v[98:99]                // 000000009568: D3B14032 1802C5BA
	v_cvt_pk_fp8_f32 v4, v4, v5                                // 000000009570: D2A20004 00020B04
	v_cvt_pk_fp8_f32 v4, v6, v7 op_sel:[0,0,1]                 // 000000009578: D2A24004 00020F06
	v_cvt_pk_fp8_f32 v5, v8, v9                                // 000000009580: D2A20005 00021308
	v_cvt_pk_fp8_f32 v5, v10, v11 op_sel:[0,0,1]               // 000000009588: D2A24005 0002170A
	v_cvt_pk_fp8_f32 v6, v12, v13                              // 000000009590: D2A20006 00021B0C
	v_cvt_pk_fp8_f32 v6, v14, v15 op_sel:[0,0,1]               // 000000009598: D2A24006 00021F0E
	v_cvt_pk_fp8_f32 v7, v16, v17                              // 0000000095A0: D2A20007 00022310
	v_cvt_pk_fp8_f32 v7, v18, v19 op_sel:[0,0,1]               // 0000000095A8: D2A24007 00022712
	v_cvt_pk_fp8_f32 v8, v20, v21                              // 0000000095B0: D2A20008 00022B14
	v_cvt_pk_fp8_f32 v8, v22, v23 op_sel:[0,0,1]               // 0000000095B8: D2A24008 00022F16
	v_cvt_pk_fp8_f32 v9, v24, v25                              // 0000000095C0: D2A20009 00023318
	v_cvt_pk_fp8_f32 v9, v26, v27 op_sel:[0,0,1]               // 0000000095C8: D2A24009 0002371A
	v_cvt_pk_fp8_f32 v10, v28, v29                             // 0000000095D0: D2A2000A 00023B1C
	v_cvt_pk_fp8_f32 v10, v30, v31 op_sel:[0,0,1]              // 0000000095D8: D2A2400A 00023F1E
	v_cvt_pk_fp8_f32 v11, v32, v33                             // 0000000095E0: D2A2000B 00024320
	v_cvt_pk_fp8_f32 v11, v34, v35 op_sel:[0,0,1]              // 0000000095E8: D2A2400B 00024722
	v_cvt_pk_fp8_f32 v12, v36, v37                             // 0000000095F0: D2A2000C 00024B24
	v_cvt_pk_fp8_f32 v12, v38, v39 op_sel:[0,0,1]              // 0000000095F8: D2A2400C 00024F26
	v_cvt_pk_fp8_f32 v13, v40, v41                             // 000000009600: D2A2000D 00025328
	v_cvt_pk_fp8_f32 v13, v42, v43 op_sel:[0,0,1]              // 000000009608: D2A2400D 0002572A
	v_cvt_pk_fp8_f32 v14, v44, v45                             // 000000009610: D2A2000E 00025B2C
	v_cvt_pk_fp8_f32 v14, v46, v47 op_sel:[0,0,1]              // 000000009618: D2A2400E 00025F2E
	v_cvt_pk_fp8_f32 v15, v48, v49                             // 000000009620: D2A2000F 00026330
	v_cvt_pk_fp8_f32 v15, v50, v51 op_sel:[0,0,1]              // 000000009628: D2A2400F 00026732
	ds_write_b32 v251, v4 offset:8192                          // 000000009630: D81A2000 000004FB
	ds_write_b32 v251, v5 offset:9216                          // 000000009638: D81A2400 000005FB
	ds_write_b32 v251, v6 offset:10240                         // 000000009640: D81A2800 000006FB
	ds_write_b32 v251, v7 offset:11264                         // 000000009648: D81A2C00 000007FB
	ds_write_b32 v251, v8 offset:12288                         // 000000009650: D81A3000 000008FB
	ds_write_b32 v251, v9 offset:13312                         // 000000009658: D81A3400 000009FB
	ds_write_b32 v251, v10 offset:14336                        // 000000009660: D81A3800 00000AFB
	ds_write_b32 v251, v11 offset:15360                        // 000000009668: D81A3C00 00000BFB
	ds_write_b32 v251, v12 offset:16384                        // 000000009670: D81A4000 00000CFB
	ds_write_b32 v251, v13 offset:17408                        // 000000009678: D81A4400 00000DFB
	ds_write_b32 v251, v14 offset:18432                        // 000000009680: D81A4800 00000EFB
	ds_write_b32 v251, v15 offset:19456                        // 000000009688: D81A4C00 00000FFB
	v_rcp_f32_e32 v158, v182                                   // 000000009690: 7F3C45B6
	v_rcp_f32_e32 v160, v184                                   // 000000009694: 7F4045B8
	v_rcp_f32_e32 v162, v186                                   // 000000009698: 7F4445BA
	v_mov_b32_e32 v159, v158                                   // 00000000969C: 7F3E039E
	v_mov_b32_e32 v161, v160                                   // 0000000096A0: 7F4203A0
	v_mov_b32_e32 v163, v162                                   // 0000000096A4: 7F4603A2
	v_pk_add_f32 v[124:125], v[124:125], v[100:101]            // 0000000096A8: D3B2407C 1802C97C
	v_pk_add_f32 v[126:127], v[126:127], v[102:103]            // 0000000096B0: D3B2407E 1802CD7E
	v_pk_add_f32 v[128:129], v[128:129], v[104:105]            // 0000000096B8: D3B24080 1802D180
	v_pk_add_f32 v[130:131], v[130:131], v[106:107]            // 0000000096C0: D3B24082 1802D582
	v_pk_add_f32 v[132:133], v[132:133], v[108:109]            // 0000000096C8: D3B24084 1802D984
	v_pk_add_f32 v[134:135], v[134:135], v[110:111]            // 0000000096D0: D3B24086 1802DD86
	v_pk_add_f32 v[136:137], v[136:137], v[112:113]            // 0000000096D8: D3B24088 1802E188
	v_pk_add_f32 v[138:139], v[138:139], v[114:115]            // 0000000096E0: D3B2408A 1802E58A
	v_pk_add_f32 v[140:141], v[140:141], v[116:117]            // 0000000096E8: D3B2408C 1802E98C
	v_pk_add_f32 v[142:143], v[142:143], v[118:119]            // 0000000096F0: D3B2408E 1802ED8E
	v_pk_add_f32 v[144:145], v[144:145], v[120:121]            // 0000000096F8: D3B24090 1802F190
	v_pk_add_f32 v[146:147], v[146:147], v[122:123]            // 000000009700: D3B24092 1802F592
	s_waitcnt lgkmcnt(0)                                       // 000000009708: BF8CC07F
	s_barrier                                                  // 00000000970C: BF8A0000
	ds_read_b128 v[4:7], v252 offset:8192                      // 000000009710: D9FE2000 040000FC
	ds_read_b128 v[8:11], v252 offset:9216                     // 000000009718: D9FE2400 080000FC
	ds_read_b128 v[12:15], v252 offset:10240                   // 000000009720: D9FE2800 0C0000FC
	ds_read_b128 v[16:19], v252 offset:11264                   // 000000009728: D9FE2C00 100000FC
	ds_read_b128 v[20:23], v252 offset:12288                   // 000000009730: D9FE3000 140000FC
	ds_read_b128 v[24:27], v252 offset:13312                   // 000000009738: D9FE3400 180000FC
	ds_read_b128 v[28:31], v252 offset:14336                   // 000000009740: D9FE3800 1C0000FC
	ds_read_b128 v[32:35], v252 offset:15360                   // 000000009748: D9FE3C00 200000FC
	ds_read_b128 v[36:39], v252 offset:16384                   // 000000009750: D9FE4000 240000FC
	ds_read_b128 v[40:43], v252 offset:17408                   // 000000009758: D9FE4400 280000FC
	ds_read_b128 v[44:47], v252 offset:18432                   // 000000009760: D9FE4800 2C0000FC
	ds_read_b128 v[48:51], v252 offset:19456                   // 000000009768: D9FE4C00 300000FC
	s_waitcnt vmcnt(10)                                        // 000000009770: BF8C0F7A
	s_waitcnt lgkmcnt(11)                                      // 000000009774: BF8CCB7F
	v_mfma_f32_16x16x32_fp8_fp8 v[100:103], a[120:121], v[4:5], 0// 000000009778: D3F30064 0A020978
	v_mfma_f32_16x16x32_fp8_fp8 v[104:107], a[136:137], v[4:5], 0// 000000009780: D3F30068 0A020988
	v_mfma_f32_16x16x32_fp8_fp8 v[100:103], a[122:123], v[6:7], v[100:103]// 000000009788: D3F30064 0D920D7A
	buffer_load_dwordx4 a[88:91], v231, s[16:19], 0 offen      // 000000009790: E05C1000 808458E7
	v_mfma_f32_16x16x32_fp8_fp8 v[104:107], a[138:139], v[6:7], v[104:107]// 000000009798: D3F30068 0DA20D8A
	s_waitcnt lgkmcnt(10)                                      // 0000000097A0: BF8CCA7F
	v_mfma_f32_16x16x32_fp8_fp8 v[100:103], a[124:125], v[8:9], v[100:103]// 0000000097A4: D3F30064 0D92117C
	v_mfma_f32_16x16x32_fp8_fp8 v[104:107], a[140:141], v[8:9], v[104:107]// 0000000097AC: D3F30068 0DA2118C
	v_mfma_f32_16x16x32_fp8_fp8 v[100:103], a[126:127], v[10:11], v[100:103]// 0000000097B4: D3F30064 0D92157E
	buffer_load_dwordx4 a[92:95], v232, s[16:19], 0 offen      // 0000000097BC: E05C1000 80845CE8
	v_mfma_f32_16x16x32_fp8_fp8 v[104:107], a[142:143], v[10:11], v[104:107]// 0000000097C4: D3F30068 0DA2158E
	s_waitcnt lgkmcnt(9)                                       // 0000000097CC: BF8CC97F
	v_mfma_f32_16x16x32_fp8_fp8 v[100:103], a[128:129], v[12:13], v[100:103]// 0000000097D0: D3F30064 0D921980
	v_mfma_f32_16x16x32_fp8_fp8 v[104:107], a[144:145], v[12:13], v[104:107]// 0000000097D8: D3F30068 0DA21990
	v_mfma_f32_16x16x32_fp8_fp8 v[100:103], a[130:131], v[14:15], v[100:103]// 0000000097E0: D3F30064 0D921D82
	buffer_load_dwordx4 a[96:99], v233, s[16:19], 0 offen      // 0000000097E8: E05C1000 808460E9
	v_mfma_f32_16x16x32_fp8_fp8 v[104:107], a[146:147], v[14:15], v[104:107]// 0000000097F0: D3F30068 0DA21D92
	s_waitcnt lgkmcnt(8)                                       // 0000000097F8: BF8CC87F
	v_mfma_f32_16x16x32_fp8_fp8 v[100:103], a[132:133], v[16:17], v[100:103]// 0000000097FC: D3F30064 0D922184
	v_mfma_f32_16x16x32_fp8_fp8 v[104:107], a[148:149], v[16:17], v[104:107]// 000000009804: D3F30068 0DA22194
	v_mfma_f32_16x16x32_fp8_fp8 v[100:103], a[134:135], v[18:19], v[100:103]// 00000000980C: D3F30064 0D922586
	buffer_load_dwordx4 a[100:103], v234, s[16:19], 0 offen    // 000000009814: E05C1000 808464EA
	v_mfma_f32_16x16x32_fp8_fp8 v[104:107], a[150:151], v[18:19], v[104:107]// 00000000981C: D3F30068 0DA22596
	s_waitcnt lgkmcnt(7)                                       // 000000009824: BF8CC77F
	v_mfma_f32_16x16x32_fp8_fp8 v[108:111], a[120:121], v[20:21], 0// 000000009828: D3F3006C 0A022978
	v_mfma_f32_16x16x32_fp8_fp8 v[112:115], a[136:137], v[20:21], 0// 000000009830: D3F30070 0A022988
	v_mfma_f32_16x16x32_fp8_fp8 v[108:111], a[122:123], v[22:23], v[108:111]// 000000009838: D3F3006C 0DB22D7A
	buffer_load_dwordx4 a[104:107], v231, s[16:19], 0 offen offset:1024// 000000009840: E05C1400 808468E7
	v_mfma_f32_16x16x32_fp8_fp8 v[112:115], a[138:139], v[22:23], v[112:115]// 000000009848: D3F30070 0DC22D8A
	s_waitcnt lgkmcnt(6)                                       // 000000009850: BF8CC67F
	v_mfma_f32_16x16x32_fp8_fp8 v[108:111], a[124:125], v[24:25], v[108:111]// 000000009854: D3F3006C 0DB2317C
	v_mfma_f32_16x16x32_fp8_fp8 v[112:115], a[140:141], v[24:25], v[112:115]// 00000000985C: D3F30070 0DC2318C
	v_mfma_f32_16x16x32_fp8_fp8 v[108:111], a[126:127], v[26:27], v[108:111]// 000000009864: D3F3006C 0DB2357E
	buffer_load_dwordx4 a[108:111], v232, s[16:19], 0 offen offset:1024// 00000000986C: E05C1400 80846CE8
	v_mfma_f32_16x16x32_fp8_fp8 v[112:115], a[142:143], v[26:27], v[112:115]// 000000009874: D3F30070 0DC2358E
	s_waitcnt lgkmcnt(5)                                       // 00000000987C: BF8CC57F
	v_mfma_f32_16x16x32_fp8_fp8 v[108:111], a[128:129], v[28:29], v[108:111]// 000000009880: D3F3006C 0DB23980
	v_mfma_f32_16x16x32_fp8_fp8 v[112:115], a[144:145], v[28:29], v[112:115]// 000000009888: D3F30070 0DC23990
	v_mfma_f32_16x16x32_fp8_fp8 v[108:111], a[130:131], v[30:31], v[108:111]// 000000009890: D3F3006C 0DB23D82
	buffer_load_dwordx4 a[112:115], v233, s[16:19], 0 offen offset:1024// 000000009898: E05C1400 808470E9
	v_mfma_f32_16x16x32_fp8_fp8 v[112:115], a[146:147], v[30:31], v[112:115]// 0000000098A0: D3F30070 0DC23D92
	s_waitcnt lgkmcnt(4)                                       // 0000000098A8: BF8CC47F
	v_mfma_f32_16x16x32_fp8_fp8 v[108:111], a[132:133], v[32:33], v[108:111]// 0000000098AC: D3F3006C 0DB24184
	v_mfma_f32_16x16x32_fp8_fp8 v[112:115], a[148:149], v[32:33], v[112:115]// 0000000098B4: D3F30070 0DC24194
	v_mfma_f32_16x16x32_fp8_fp8 v[108:111], a[134:135], v[34:35], v[108:111]// 0000000098BC: D3F3006C 0DB24586
	buffer_load_dwordx4 a[116:119], v234, s[16:19], 0 offen offset:1024// 0000000098C4: E05C1400 808474EA
	v_mfma_f32_16x16x32_fp8_fp8 v[112:115], a[150:151], v[34:35], v[112:115]// 0000000098CC: D3F30070 0DC24596
	s_waitcnt lgkmcnt(3)                                       // 0000000098D4: BF8CC37F
	v_mfma_f32_16x16x32_fp8_fp8 v[116:119], a[120:121], v[36:37], 0// 0000000098D8: D3F30074 0A024978
	v_mfma_f32_16x16x32_fp8_fp8 v[120:123], a[136:137], v[36:37], 0// 0000000098E0: D3F30078 0A024988
	v_mfma_f32_16x16x32_fp8_fp8 v[116:119], a[122:123], v[38:39], v[116:119]// 0000000098E8: D3F30074 0DD24D7A
	v_mfma_f32_16x16x32_fp8_fp8 v[120:123], a[138:139], v[38:39], v[120:123]// 0000000098F0: D3F30078 0DE24D8A
	s_waitcnt lgkmcnt(2)                                       // 0000000098F8: BF8CC27F
	v_mfma_f32_16x16x32_fp8_fp8 v[116:119], a[124:125], v[40:41], v[116:119]// 0000000098FC: D3F30074 0DD2517C
	v_mfma_f32_16x16x32_fp8_fp8 v[120:123], a[140:141], v[40:41], v[120:123]// 000000009904: D3F30078 0DE2518C
	v_mfma_f32_16x16x32_fp8_fp8 v[116:119], a[126:127], v[42:43], v[116:119]// 00000000990C: D3F30074 0DD2557E
	v_mfma_f32_16x16x32_fp8_fp8 v[120:123], a[142:143], v[42:43], v[120:123]// 000000009914: D3F30078 0DE2558E
	s_waitcnt lgkmcnt(1)                                       // 00000000991C: BF8CC17F
	v_mfma_f32_16x16x32_fp8_fp8 v[116:119], a[128:129], v[44:45], v[116:119]// 000000009920: D3F30074 0DD25980
	v_mfma_f32_16x16x32_fp8_fp8 v[120:123], a[144:145], v[44:45], v[120:123]// 000000009928: D3F30078 0DE25990
	v_mfma_f32_16x16x32_fp8_fp8 v[116:119], a[130:131], v[46:47], v[116:119]// 000000009930: D3F30074 0DD25D82
	v_mfma_f32_16x16x32_fp8_fp8 v[120:123], a[146:147], v[46:47], v[120:123]// 000000009938: D3F30078 0DE25D92
	s_waitcnt lgkmcnt(0)                                       // 000000009940: BF8CC07F
	v_mfma_f32_16x16x32_fp8_fp8 v[116:119], a[132:133], v[48:49], v[116:119]// 000000009944: D3F30074 0DD26184
	v_mfma_f32_16x16x32_fp8_fp8 v[120:123], a[148:149], v[48:49], v[120:123]// 00000000994C: D3F30078 0DE26194
	v_mfma_f32_16x16x32_fp8_fp8 v[116:119], a[134:135], v[50:51], v[116:119]// 000000009954: D3F30074 0DD26586
	v_mfma_f32_16x16x32_fp8_fp8 v[120:123], a[150:151], v[50:51], v[120:123]// 00000000995C: D3F30078 0DE26596
	s_addk_i32 s64, 0x100                                      // 000000009964: B7400100
	s_cmp_lt_i32 s64, s63                                      // 000000009968: BF043F40
	s_cbranch_scc0 label_339E                                  // 00000000996C: BF8416C2
	s_waitcnt vmcnt(10)                                        // 000000009970: BF8C0F7A
	v_mfma_f32_16x16x32_fp8_fp8 v[4:7], a[24:25], a[0:1], 0    // 000000009974: D3F30004 1A020118
	s_add_u32 s12, s86, s69                                    // 00000000997C: 800C4556
	s_addc_u32 s13, s87, 0                                     // 000000009980: 820D8057
	v_mfma_f32_16x16x32_fp8_fp8 v[4:7], a[26:27], a[2:3], v[4:7]// 000000009984: D3F30004 1C12051A
	s_add_u32 s16, s88, s70                                    // 00000000998C: 80104658
	s_addc_u32 s17, s89, 0                                     // 000000009990: 82118059
	v_mfma_f32_16x16x32_fp8_fp8 v[4:7], a[28:29], a[4:5], v[4:7]// 000000009994: D3F30004 1C12091C
	buffer_load_dwordx4 a[56:59], v229, s[12:15], 0 offen      // 00000000999C: E05C1000 808338E5
	v_mfma_f32_16x16x32_fp8_fp8 v[4:7], a[30:31], a[6:7], v[4:7]// 0000000099A4: D3F30004 1C120D1E
	s_add_u32 s20, s90, s71                                    // 0000000099AC: 8014475A
	s_addc_u32 s21, s91, 0                                     // 0000000099B0: 8215805B
	v_mfma_f32_16x16x32_fp8_fp8 v[8:11], a[32:33], a[0:1], 0   // 0000000099B4: D3F30008 1A020120
	s_add_u32 s24, s92, s71                                    // 0000000099BC: 8018475C
	s_addc_u32 s25, s93, 0                                     // 0000000099C0: 8219805D
	v_mfma_f32_16x16x32_fp8_fp8 v[8:11], a[34:35], a[2:3], v[8:11]// 0000000099C4: D3F30008 1C220522
	s_mul_i32 s69, s59, s50                                    // 0000000099CC: 9245323B
	s_mul_i32 s71, s59, s66                                    // 0000000099D0: 9247423B
	v_mfma_f32_16x16x32_fp8_fp8 v[8:11], a[36:37], a[4:5], v[8:11]// 0000000099D4: D3F30008 1C220924
	buffer_load_dwordx4 a[60:63], v230, s[12:15], 0 offen      // 0000000099DC: E05C1000 80833CE6
	v_mfma_f32_16x16x32_fp8_fp8 v[8:11], a[38:39], a[6:7], v[8:11]// 0000000099E4: D3F30008 1C220D26
	s_mul_i32 s54, s78, s51                                    // 0000000099EC: 9236334E
	s_add_u32 s69, s69, s54                                    // 0000000099F0: 80453645
	v_mfma_f32_16x16x32_fp8_fp8 v[12:15], a[40:41], a[0:1], 0  // 0000000099F4: D3F3000C 1A020128
	s_mov_b32 s70, s69                                         // 0000000099FC: BEC60045
	v_mfma_f32_16x16x32_fp8_fp8 v[12:15], a[42:43], a[2:3], v[12:15]// 000000009A00: D3F3000C 1C32052A
	s_mul_i32 s54, s78, 4                                      // 000000009A08: 9236844E
	s_add_u32 s71, s71, s54                                    // 000000009A0C: 80473647
	v_mfma_f32_16x16x32_fp8_fp8 v[12:15], a[44:45], a[4:5], v[12:15]// 000000009A10: D3F3000C 1C32092C
	buffer_load_dwordx4 a[64:67], v229, s[12:15], 0 offen offset:1024// 000000009A18: E05C1400 808340E5
	v_mfma_f32_16x16x32_fp8_fp8 v[12:15], a[46:47], a[6:7], v[12:15]// 000000009A20: D3F3000C 1C320D2E
	v_mfma_f32_16x16x32_fp8_fp8 v[16:19], a[48:49], a[0:1], 0  // 000000009A28: D3F30010 1A020130
	v_mfma_f32_16x16x32_fp8_fp8 v[16:19], a[50:51], a[2:3], v[16:19]// 000000009A30: D3F30010 1C420532
	v_mfma_f32_16x16x32_fp8_fp8 v[16:19], a[52:53], a[4:5], v[16:19]// 000000009A38: D3F30010 1C420934
	buffer_load_dwordx4 a[68:71], v230, s[12:15], 0 offen offset:1024// 000000009A40: E05C1400 808344E6
	v_mfma_f32_16x16x32_fp8_fp8 v[16:19], a[54:55], a[6:7], v[16:19]// 000000009A48: D3F30010 1C420D36
	v_mfma_f32_16x16x32_fp8_fp8 v[20:23], a[24:25], a[8:9], 0  // 000000009A50: D3F30014 1A021118
	v_mfma_f32_16x16x32_fp8_fp8 v[20:23], a[26:27], a[10:11], v[20:23]// 000000009A58: D3F30014 1C52151A
	v_mfma_f32_16x16x32_fp8_fp8 v[20:23], a[28:29], a[12:13], v[20:23]// 000000009A60: D3F30014 1C52191C
	buffer_load_dwordx4 a[72:75], v229, s[12:15], 0 offen offset:2048// 000000009A68: E05C1800 808348E5
	v_mfma_f32_16x16x32_fp8_fp8 v[20:23], a[30:31], a[14:15], v[20:23]// 000000009A70: D3F30014 1C521D1E
	v_mfma_f32_16x16x32_fp8_fp8 v[24:27], a[32:33], a[8:9], 0  // 000000009A78: D3F30018 1A021120
	v_mfma_f32_16x16x32_fp8_fp8 v[24:27], a[34:35], a[10:11], v[24:27]// 000000009A80: D3F30018 1C621522
	v_mfma_f32_16x16x32_fp8_fp8 v[24:27], a[36:37], a[12:13], v[24:27]// 000000009A88: D3F30018 1C621924
	buffer_load_dwordx4 a[76:79], v230, s[12:15], 0 offen offset:2048// 000000009A90: E05C1800 80834CE6
	v_mfma_f32_16x16x32_fp8_fp8 v[24:27], a[38:39], a[14:15], v[24:27]// 000000009A98: D3F30018 1C621D26
	v_mfma_f32_16x16x32_fp8_fp8 v[28:31], a[40:41], a[8:9], 0  // 000000009AA0: D3F3001C 1A021128
	v_mfma_f32_16x16x32_fp8_fp8 v[28:31], a[42:43], a[10:11], v[28:31]// 000000009AA8: D3F3001C 1C72152A
	v_mfma_f32_16x16x32_fp8_fp8 v[28:31], a[44:45], a[12:13], v[28:31]// 000000009AB0: D3F3001C 1C72192C
	buffer_load_dwordx4 a[80:83], v229, s[12:15], 0 offen offset:3072// 000000009AB8: E05C1C00 808350E5
	v_mfma_f32_16x16x32_fp8_fp8 v[28:31], a[46:47], a[14:15], v[28:31]// 000000009AC0: D3F3001C 1C721D2E
	v_mfma_f32_16x16x32_fp8_fp8 v[32:35], a[48:49], a[8:9], 0  // 000000009AC8: D3F30020 1A021130
	v_mfma_f32_16x16x32_fp8_fp8 v[32:35], a[50:51], a[10:11], v[32:35]// 000000009AD0: D3F30020 1C821532
	v_mfma_f32_16x16x32_fp8_fp8 v[32:35], a[52:53], a[12:13], v[32:35]// 000000009AD8: D3F30020 1C821934
	buffer_load_dwordx4 a[84:87], v230, s[12:15], 0 offen offset:3072// 000000009AE0: E05C1C00 808354E6
	v_mfma_f32_16x16x32_fp8_fp8 v[32:35], a[54:55], a[14:15], v[32:35]// 000000009AE8: D3F30020 1C821D36
	v_mfma_f32_16x16x32_fp8_fp8 v[36:39], a[24:25], a[16:17], 0// 000000009AF0: D3F30024 1A022118
	v_mfma_f32_16x16x32_fp8_fp8 v[36:39], a[26:27], a[18:19], v[36:39]// 000000009AF8: D3F30024 1C92251A
	v_mfma_f32_16x16x32_fp8_fp8 v[36:39], a[28:29], a[20:21], v[36:39]// 000000009B00: D3F30024 1C92291C
	v_mfma_f32_16x16x32_fp8_fp8 v[36:39], a[30:31], a[22:23], v[36:39]// 000000009B08: D3F30024 1C922D1E
	v_mfma_f32_16x16x32_fp8_fp8 v[40:43], a[32:33], a[16:17], 0// 000000009B10: D3F30028 1A022120
	v_mfma_f32_16x16x32_fp8_fp8 v[40:43], a[34:35], a[18:19], v[40:43]// 000000009B18: D3F30028 1CA22522
	v_mfma_f32_16x16x32_fp8_fp8 v[40:43], a[36:37], a[20:21], v[40:43]// 000000009B20: D3F30028 1CA22924
	v_mfma_f32_16x16x32_fp8_fp8 v[40:43], a[38:39], a[22:23], v[40:43]// 000000009B28: D3F30028 1CA22D26
	v_mfma_f32_16x16x32_fp8_fp8 v[44:47], a[40:41], a[16:17], 0// 000000009B30: D3F3002C 1A022128
	v_mfma_f32_16x16x32_fp8_fp8 v[44:47], a[42:43], a[18:19], v[44:47]// 000000009B38: D3F3002C 1CB2252A
	v_mfma_f32_16x16x32_fp8_fp8 v[44:47], a[44:45], a[20:21], v[44:47]// 000000009B40: D3F3002C 1CB2292C
	v_mfma_f32_16x16x32_fp8_fp8 v[44:47], a[46:47], a[22:23], v[44:47]// 000000009B48: D3F3002C 1CB22D2E
	v_mfma_f32_16x16x32_fp8_fp8 v[48:51], a[48:49], a[16:17], 0// 000000009B50: D3F30030 1A022130
	v_mfma_f32_16x16x32_fp8_fp8 v[48:51], a[50:51], a[18:19], v[48:51]// 000000009B58: D3F30030 1CC22532
	v_mfma_f32_16x16x32_fp8_fp8 v[48:51], a[52:53], a[20:21], v[48:51]// 000000009B60: D3F30030 1CC22934
	v_mfma_f32_16x16x32_fp8_fp8 v[48:51], a[54:55], a[22:23], v[48:51]// 000000009B68: D3F30030 1CC22D36
	s_waitcnt vmcnt(16)                                        // 000000009B70: BF8C4F70
	v_pk_mul_f32 v[4:5], v[148:149], v[4:5]                    // 000000009B74: D3B14004 18020994
	v_pk_mul_f32 v[6:7], v[148:149], v[6:7]                    // 000000009B7C: D3B14006 18020D94
	v_mul_f32_dpp v4, v154, v4 row_newbcast:0 row_mask:0xf bank_mask:0xf// 000000009B84: 0A0808FA FF01509A
	v_mul_f32_dpp v5, v154, v5 row_newbcast:1 row_mask:0xf bank_mask:0xf// 000000009B8C: 0A0A0AFA FF01519A
	v_mul_f32_dpp v6, v154, v6 row_newbcast:2 row_mask:0xf bank_mask:0xf// 000000009B94: 0A0C0CFA FF01529A
	v_mul_f32_dpp v7, v154, v7 row_newbcast:3 row_mask:0xf bank_mask:0xf// 000000009B9C: 0A0E0EFA FF01539A
	v_pk_mul_f32 v[8:9], v[148:149], v[8:9]                    // 000000009BA4: D3B14008 18021194
	v_pk_mul_f32 v[10:11], v[148:149], v[10:11]                // 000000009BAC: D3B1400A 18021594
	v_mul_f32_dpp v8, v154, v8 row_newbcast:4 row_mask:0xf bank_mask:0xf// 000000009BB4: 0A1010FA FF01549A
	v_mul_f32_dpp v9, v154, v9 row_newbcast:5 row_mask:0xf bank_mask:0xf// 000000009BBC: 0A1212FA FF01559A
	v_mul_f32_dpp v10, v154, v10 row_newbcast:6 row_mask:0xf bank_mask:0xf// 000000009BC4: 0A1414FA FF01569A
	v_mul_f32_dpp v11, v154, v11 row_newbcast:7 row_mask:0xf bank_mask:0xf// 000000009BCC: 0A1616FA FF01579A
	v_pk_mul_f32 v[12:13], v[148:149], v[12:13]                // 000000009BD4: D3B1400C 18021994
	v_pk_mul_f32 v[14:15], v[148:149], v[14:15]                // 000000009BDC: D3B1400E 18021D94
	v_mul_f32_dpp v12, v154, v12 row_newbcast:8 row_mask:0xf bank_mask:0xf// 000000009BE4: 0A1818FA FF01589A
	v_mul_f32_dpp v13, v154, v13 row_newbcast:9 row_mask:0xf bank_mask:0xf// 000000009BEC: 0A1A1AFA FF01599A
	v_mul_f32_dpp v14, v154, v14 row_newbcast:10 row_mask:0xf bank_mask:0xf// 000000009BF4: 0A1C1CFA FF015A9A
	v_mul_f32_dpp v15, v154, v15 row_newbcast:11 row_mask:0xf bank_mask:0xf// 000000009BFC: 0A1E1EFA FF015B9A
	v_pk_mul_f32 v[16:17], v[148:149], v[16:17]                // 000000009C04: D3B14010 18022194
	v_pk_mul_f32 v[18:19], v[148:149], v[18:19]                // 000000009C0C: D3B14012 18022594
	v_mul_f32_dpp v16, v154, v16 row_newbcast:12 row_mask:0xf bank_mask:0xf// 000000009C14: 0A2020FA FF015C9A
	v_mul_f32_dpp v17, v154, v17 row_newbcast:13 row_mask:0xf bank_mask:0xf// 000000009C1C: 0A2222FA FF015D9A
	v_mul_f32_dpp v18, v154, v18 row_newbcast:14 row_mask:0xf bank_mask:0xf// 000000009C24: 0A2424FA FF015E9A
	v_mul_f32_dpp v19, v154, v19 row_newbcast:15 row_mask:0xf bank_mask:0xf// 000000009C2C: 0A2626FA FF015F9A
	v_pk_mul_f32 v[20:21], v[150:151], v[20:21]                // 000000009C34: D3B14014 18022996
	v_pk_mul_f32 v[22:23], v[150:151], v[22:23]                // 000000009C3C: D3B14016 18022D96
	v_mul_f32_dpp v20, v154, v20 row_newbcast:0 row_mask:0xf bank_mask:0xf// 000000009C44: 0A2828FA FF01509A
	v_mul_f32_dpp v21, v154, v21 row_newbcast:1 row_mask:0xf bank_mask:0xf// 000000009C4C: 0A2A2AFA FF01519A
	v_mul_f32_dpp v22, v154, v22 row_newbcast:2 row_mask:0xf bank_mask:0xf// 000000009C54: 0A2C2CFA FF01529A
	v_mul_f32_dpp v23, v154, v23 row_newbcast:3 row_mask:0xf bank_mask:0xf// 000000009C5C: 0A2E2EFA FF01539A
	v_pk_mul_f32 v[24:25], v[150:151], v[24:25]                // 000000009C64: D3B14018 18023196
	v_pk_mul_f32 v[26:27], v[150:151], v[26:27]                // 000000009C6C: D3B1401A 18023596
	v_mul_f32_dpp v24, v154, v24 row_newbcast:4 row_mask:0xf bank_mask:0xf// 000000009C74: 0A3030FA FF01549A
	v_mul_f32_dpp v25, v154, v25 row_newbcast:5 row_mask:0xf bank_mask:0xf// 000000009C7C: 0A3232FA FF01559A
	v_mul_f32_dpp v26, v154, v26 row_newbcast:6 row_mask:0xf bank_mask:0xf// 000000009C84: 0A3434FA FF01569A
	v_mul_f32_dpp v27, v154, v27 row_newbcast:7 row_mask:0xf bank_mask:0xf// 000000009C8C: 0A3636FA FF01579A
	v_pk_mul_f32 v[28:29], v[150:151], v[28:29]                // 000000009C94: D3B1401C 18023996
	v_pk_mul_f32 v[30:31], v[150:151], v[30:31]                // 000000009C9C: D3B1401E 18023D96
	v_mul_f32_dpp v28, v154, v28 row_newbcast:8 row_mask:0xf bank_mask:0xf// 000000009CA4: 0A3838FA FF01589A
	v_mul_f32_dpp v29, v154, v29 row_newbcast:9 row_mask:0xf bank_mask:0xf// 000000009CAC: 0A3A3AFA FF01599A
	v_mul_f32_dpp v30, v154, v30 row_newbcast:10 row_mask:0xf bank_mask:0xf// 000000009CB4: 0A3C3CFA FF015A9A
	v_mul_f32_dpp v31, v154, v31 row_newbcast:11 row_mask:0xf bank_mask:0xf// 000000009CBC: 0A3E3EFA FF015B9A
	v_pk_mul_f32 v[32:33], v[150:151], v[32:33]                // 000000009CC4: D3B14020 18024196
	v_pk_mul_f32 v[34:35], v[150:151], v[34:35]                // 000000009CCC: D3B14022 18024596
	v_mul_f32_dpp v32, v154, v32 row_newbcast:12 row_mask:0xf bank_mask:0xf// 000000009CD4: 0A4040FA FF015C9A
	v_mul_f32_dpp v33, v154, v33 row_newbcast:13 row_mask:0xf bank_mask:0xf// 000000009CDC: 0A4242FA FF015D9A
	v_mul_f32_dpp v34, v154, v34 row_newbcast:14 row_mask:0xf bank_mask:0xf// 000000009CE4: 0A4444FA FF015E9A
	v_mul_f32_dpp v35, v154, v35 row_newbcast:15 row_mask:0xf bank_mask:0xf// 000000009CEC: 0A4646FA FF015F9A
	v_pk_mul_f32 v[36:37], v[152:153], v[36:37]                // 000000009CF4: D3B14024 18024998
	v_pk_mul_f32 v[38:39], v[152:153], v[38:39]                // 000000009CFC: D3B14026 18024D98
	v_mul_f32_dpp v36, v154, v36 row_newbcast:0 row_mask:0xf bank_mask:0xf// 000000009D04: 0A4848FA FF01509A
	v_mul_f32_dpp v37, v154, v37 row_newbcast:1 row_mask:0xf bank_mask:0xf// 000000009D0C: 0A4A4AFA FF01519A
	v_mul_f32_dpp v38, v154, v38 row_newbcast:2 row_mask:0xf bank_mask:0xf// 000000009D14: 0A4C4CFA FF01529A
	v_mul_f32_dpp v39, v154, v39 row_newbcast:3 row_mask:0xf bank_mask:0xf// 000000009D1C: 0A4E4EFA FF01539A
	v_pk_mul_f32 v[40:41], v[152:153], v[40:41]                // 000000009D24: D3B14028 18025198
	v_pk_mul_f32 v[42:43], v[152:153], v[42:43]                // 000000009D2C: D3B1402A 18025598
	v_mul_f32_dpp v40, v154, v40 row_newbcast:4 row_mask:0xf bank_mask:0xf// 000000009D34: 0A5050FA FF01549A
	v_mul_f32_dpp v41, v154, v41 row_newbcast:5 row_mask:0xf bank_mask:0xf// 000000009D3C: 0A5252FA FF01559A
	v_mul_f32_dpp v42, v154, v42 row_newbcast:6 row_mask:0xf bank_mask:0xf// 000000009D44: 0A5454FA FF01569A
	v_mul_f32_dpp v43, v154, v43 row_newbcast:7 row_mask:0xf bank_mask:0xf// 000000009D4C: 0A5656FA FF01579A
	v_pk_mul_f32 v[44:45], v[152:153], v[44:45]                // 000000009D54: D3B1402C 18025998
	v_pk_mul_f32 v[46:47], v[152:153], v[46:47]                // 000000009D5C: D3B1402E 18025D98
	v_mul_f32_dpp v44, v154, v44 row_newbcast:8 row_mask:0xf bank_mask:0xf// 000000009D64: 0A5858FA FF01589A
	v_mul_f32_dpp v45, v154, v45 row_newbcast:9 row_mask:0xf bank_mask:0xf// 000000009D6C: 0A5A5AFA FF01599A
	v_mul_f32_dpp v46, v154, v46 row_newbcast:10 row_mask:0xf bank_mask:0xf// 000000009D74: 0A5C5CFA FF015A9A
	v_mul_f32_dpp v47, v154, v47 row_newbcast:11 row_mask:0xf bank_mask:0xf// 000000009D7C: 0A5E5EFA FF015B9A
	v_pk_mul_f32 v[48:49], v[152:153], v[48:49]                // 000000009D84: D3B14030 18026198
	v_pk_mul_f32 v[50:51], v[152:153], v[50:51]                // 000000009D8C: D3B14032 18026598
	v_mul_f32_dpp v48, v154, v48 row_newbcast:12 row_mask:0xf bank_mask:0xf// 000000009D94: 0A6060FA FF015C9A
	v_mul_f32_dpp v49, v154, v49 row_newbcast:13 row_mask:0xf bank_mask:0xf// 000000009D9C: 0A6262FA FF015D9A
	v_mul_f32_dpp v50, v154, v50 row_newbcast:14 row_mask:0xf bank_mask:0xf// 000000009DA4: 0A6464FA FF015E9A
	v_mul_f32_dpp v51, v154, v51 row_newbcast:15 row_mask:0xf bank_mask:0xf// 000000009DAC: 0A6666FA FF015F9A
	v_mov_b32_e32 v182, v4                                     // 000000009DB4: 7F6C0304
	v_max3_f32 v182, v4, v5, v182                              // 000000009DB8: D1D300B6 06DA0B04
	v_max3_f32 v182, v6, v7, v182                              // 000000009DC0: D1D300B6 06DA0F06
	v_max3_f32 v182, v8, v9, v182                              // 000000009DC8: D1D300B6 06DA1308
	v_max3_f32 v182, v10, v11, v182                            // 000000009DD0: D1D300B6 06DA170A
	v_max3_f32 v182, v12, v13, v182                            // 000000009DD8: D1D300B6 06DA1B0C
	v_max3_f32 v182, v14, v15, v182                            // 000000009DE0: D1D300B6 06DA1F0E
	v_max3_f32 v182, v16, v17, v182                            // 000000009DE8: D1D300B6 06DA2310
	v_max3_f32 v182, v18, v19, v182                            // 000000009DF0: D1D300B6 06DA2712
	v_mov_b32_e32 v183, v20                                    // 000000009DF8: 7F6E0314
	v_max3_f32 v183, v20, v21, v183                            // 000000009DFC: D1D300B7 06DE2B14
	v_max3_f32 v183, v22, v23, v183                            // 000000009E04: D1D300B7 06DE2F16
	v_max3_f32 v183, v24, v25, v183                            // 000000009E0C: D1D300B7 06DE3318
	v_max3_f32 v183, v26, v27, v183                            // 000000009E14: D1D300B7 06DE371A
	v_max3_f32 v183, v28, v29, v183                            // 000000009E1C: D1D300B7 06DE3B1C
	v_max3_f32 v183, v30, v31, v183                            // 000000009E24: D1D300B7 06DE3F1E
	v_max3_f32 v183, v32, v33, v183                            // 000000009E2C: D1D300B7 06DE4320
	v_max3_f32 v183, v34, v35, v183                            // 000000009E34: D1D300B7 06DE4722
	v_mov_b32_e32 v184, v36                                    // 000000009E3C: 7F700324
	v_max3_f32 v184, v36, v37, v184                            // 000000009E40: D1D300B8 06E24B24
	v_max3_f32 v184, v38, v39, v184                            // 000000009E48: D1D300B8 06E24F26
	v_max3_f32 v184, v40, v41, v184                            // 000000009E50: D1D300B8 06E25328
	v_max3_f32 v184, v42, v43, v184                            // 000000009E58: D1D300B8 06E2572A
	v_max3_f32 v184, v44, v45, v184                            // 000000009E60: D1D300B8 06E25B2C
	v_max3_f32 v184, v46, v47, v184                            // 000000009E68: D1D300B8 06E25F2E
	v_max3_f32 v184, v48, v49, v184                            // 000000009E70: D1D300B8 06E26330
	v_max3_f32 v184, v50, v51, v184                            // 000000009E78: D1D300B8 06E26732
	v_pk_mul_f32 v[124:125], v[170:171], v[124:125]            // 000000009E80: D3B1407C 1802F9AA
	v_pk_mul_f32 v[126:127], v[170:171], v[126:127]            // 000000009E88: D3B1407E 1802FDAA
	v_pk_mul_f32 v[128:129], v[170:171], v[128:129]            // 000000009E90: D3B14080 180301AA
	v_pk_mul_f32 v[130:131], v[170:171], v[130:131]            // 000000009E98: D3B14082 180305AA
	v_pk_mul_f32 v[132:133], v[172:173], v[132:133]            // 000000009EA0: D3B14084 180309AC
	v_pk_mul_f32 v[134:135], v[172:173], v[134:135]            // 000000009EA8: D3B14086 18030DAC
	v_pk_mul_f32 v[136:137], v[172:173], v[136:137]            // 000000009EB0: D3B14088 180311AC
	v_pk_mul_f32 v[138:139], v[172:173], v[138:139]            // 000000009EB8: D3B1408A 180315AC
	v_pk_mul_f32 v[140:141], v[174:175], v[140:141]            // 000000009EC0: D3B1408C 180319AE
	v_pk_mul_f32 v[142:143], v[174:175], v[142:143]            // 000000009EC8: D3B1408E 18031DAE
	v_pk_mul_f32 v[144:145], v[174:175], v[144:145]            // 000000009ED0: D3B14090 180321AE
	v_pk_mul_f32 v[146:147], v[174:175], v[146:147]            // 000000009ED8: D3B14092 180325AE
	ds_bpermute_b32 v188, v208, v182                           // 000000009EE0: D87E0000 BC00B6D0
	ds_bpermute_b32 v189, v209, v182                           // 000000009EE8: D87E0000 BD00B6D1
	ds_bpermute_b32 v190, v210, v182                           // 000000009EF0: D87E0000 BE00B6D2
	ds_bpermute_b32 v191, v208, v183                           // 000000009EF8: D87E0000 BF00B7D0
	ds_bpermute_b32 v192, v209, v183                           // 000000009F00: D87E0000 C000B7D1
	ds_bpermute_b32 v193, v210, v183                           // 000000009F08: D87E0000 C100B7D2
	ds_bpermute_b32 v194, v208, v184                           // 000000009F10: D87E0000 C200B8D0
	ds_bpermute_b32 v195, v209, v184                           // 000000009F18: D87E0000 C300B8D1
	ds_bpermute_b32 v196, v210, v184                           // 000000009F20: D87E0000 C400B8D2
	s_waitcnt lgkmcnt(6)                                       // 000000009F28: BF8CC67F
	v_max3_f32 v182, v188, v189, v182                          // 000000009F2C: D1D300B6 06DB7BBC
	v_max_f32_e32 v182, v190, v182                             // 000000009F34: 176D6DBE
	s_waitcnt lgkmcnt(3)                                       // 000000009F38: BF8CC37F
	v_max3_f32 v183, v191, v192, v183                          // 000000009F3C: D1D300B7 06DF81BF
	v_max_f32_e32 v183, v193, v183                             // 000000009F44: 176F6FC1
	s_waitcnt lgkmcnt(0)                                       // 000000009F48: BF8CC07F
	v_max3_f32 v184, v194, v195, v184                          // 000000009F4C: D1D300B8 06E387C2
	v_max_f32_e32 v184, v196, v184                             // 000000009F54: 177171C4
	ds_write_b128 v249, v[182:185]                             // 000000009F58: D9BE0000 0000B6F9
	s_waitcnt lgkmcnt(0)                                       // 000000009F60: BF8CC07F
	s_barrier                                                  // 000000009F64: BF8A0000
	v_pk_mul_f32 v[100:101], v[158:159], v[100:101]            // 000000009F68: D3B14064 1802C99E
	v_pk_mul_f32 v[102:103], v[158:159], v[102:103]            // 000000009F70: D3B14066 1802CD9E
	v_pk_mul_f32 v[104:105], v[158:159], v[104:105]            // 000000009F78: D3B14068 1802D19E
	v_pk_mul_f32 v[106:107], v[158:159], v[106:107]            // 000000009F80: D3B1406A 1802D59E
	v_pk_mul_f32 v[108:109], v[160:161], v[108:109]            // 000000009F88: D3B1406C 1802D9A0
	v_pk_mul_f32 v[110:111], v[160:161], v[110:111]            // 000000009F90: D3B1406E 1802DDA0
	v_pk_mul_f32 v[112:113], v[160:161], v[112:113]            // 000000009F98: D3B14070 1802E1A0
	v_pk_mul_f32 v[114:115], v[160:161], v[114:115]            // 000000009FA0: D3B14072 1802E5A0
	v_pk_mul_f32 v[116:117], v[162:163], v[116:117]            // 000000009FA8: D3B14074 1802E9A2
	v_pk_mul_f32 v[118:119], v[162:163], v[118:119]            // 000000009FB0: D3B14076 1802EDA2
	v_pk_mul_f32 v[120:121], v[162:163], v[120:121]            // 000000009FB8: D3B14078 1802F1A2
	v_pk_mul_f32 v[122:123], v[162:163], v[122:123]            // 000000009FC0: D3B1407A 1802F5A2
	ds_read_b128 v[188:191], v250                              // 000000009FC8: D9FE0000 BC0000FA
	ds_read_b128 v[192:195], v250 offset:256                   // 000000009FD0: D9FE0100 C00000FA
	ds_read_b128 v[196:199], v250 offset:512                   // 000000009FD8: D9FE0200 C40000FA
	ds_read_b128 v[200:203], v250 offset:768                   // 000000009FE0: D9FE0300 C80000FA
	s_waitcnt lgkmcnt(0)                                       // 000000009FE8: BF8CC07F
	v_max3_f32 v182, v188, v192, v182                          // 000000009FEC: D1D300B6 06DB81BC
	v_max3_f32 v183, v189, v193, v183                          // 000000009FF4: D1D300B7 06DF83BD
	v_max3_f32 v184, v190, v194, v184                          // 000000009FFC: D1D300B8 06E385BE
	v_max3_f32 v182, v196, v200, v182                          // 00000000A004: D1D300B6 06DB91C4
	v_max3_f32 v183, v197, v201, v183                          // 00000000A00C: D1D300B7 06DF93C5
	v_max3_f32 v184, v198, v202, v184                          // 00000000A014: D1D300B8 06E395C6
	v_max_f32_e32 v167, v182, v164                             // 00000000A01C: 174F49B6
	v_mul_f32_e64 v204, -s46, v167                             // 00000000A020: D10500CC 20034E2E
	v_mov_b32_e32 v205, v204                                   // 00000000A028: 7F9A03CC
	v_pk_fma_f32 v[4:5], v[4:5], s[46:47], v[204:205]          // 00000000A02C: D3B04004 1F305D04
	v_pk_fma_f32 v[6:7], v[6:7], s[46:47], v[204:205]          // 00000000A034: D3B04006 1F305D06
	v_exp_f32_e32 v4, v4                                       // 00000000A03C: 7E084104
	v_exp_f32_e32 v5, v5                                       // 00000000A040: 7E0A4105
	v_exp_f32_e32 v6, v6                                       // 00000000A044: 7E0C4106
	v_exp_f32_e32 v7, v7                                       // 00000000A048: 7E0E4107
	v_pk_fma_f32 v[8:9], v[8:9], s[46:47], v[204:205]          // 00000000A04C: D3B04008 1F305D08
	v_pk_fma_f32 v[10:11], v[10:11], s[46:47], v[204:205]      // 00000000A054: D3B0400A 1F305D0A
	v_exp_f32_e32 v8, v8                                       // 00000000A05C: 7E104108
	v_exp_f32_e32 v9, v9                                       // 00000000A060: 7E124109
	v_exp_f32_e32 v10, v10                                     // 00000000A064: 7E14410A
	v_exp_f32_e32 v11, v11                                     // 00000000A068: 7E16410B
	v_pk_fma_f32 v[12:13], v[12:13], s[46:47], v[204:205]      // 00000000A06C: D3B0400C 1F305D0C
	v_pk_fma_f32 v[14:15], v[14:15], s[46:47], v[204:205]      // 00000000A074: D3B0400E 1F305D0E
	v_exp_f32_e32 v12, v12                                     // 00000000A07C: 7E18410C
	v_exp_f32_e32 v13, v13                                     // 00000000A080: 7E1A410D
	v_exp_f32_e32 v14, v14                                     // 00000000A084: 7E1C410E
	v_exp_f32_e32 v15, v15                                     // 00000000A088: 7E1E410F
	v_pk_fma_f32 v[16:17], v[16:17], s[46:47], v[204:205]      // 00000000A08C: D3B04010 1F305D10
	v_pk_fma_f32 v[18:19], v[18:19], s[46:47], v[204:205]      // 00000000A094: D3B04012 1F305D12
	v_exp_f32_e32 v16, v16                                     // 00000000A09C: 7E204110
	v_exp_f32_e32 v17, v17                                     // 00000000A0A0: 7E224111
	v_exp_f32_e32 v18, v18                                     // 00000000A0A4: 7E244112
	v_exp_f32_e32 v19, v19                                     // 00000000A0A8: 7E264113
	v_max_f32_e32 v168, v183, v165                             // 00000000A0AC: 17514BB7
	v_mul_f32_e64 v204, -s46, v168                             // 00000000A0B0: D10500CC 2003502E
	v_mov_b32_e32 v205, v204                                   // 00000000A0B8: 7F9A03CC
	v_pk_fma_f32 v[20:21], v[20:21], s[46:47], v[204:205]      // 00000000A0BC: D3B04014 1F305D14
	v_pk_fma_f32 v[22:23], v[22:23], s[46:47], v[204:205]      // 00000000A0C4: D3B04016 1F305D16
	v_exp_f32_e32 v20, v20                                     // 00000000A0CC: 7E284114
	v_exp_f32_e32 v21, v21                                     // 00000000A0D0: 7E2A4115
	v_exp_f32_e32 v22, v22                                     // 00000000A0D4: 7E2C4116
	v_exp_f32_e32 v23, v23                                     // 00000000A0D8: 7E2E4117
	v_pk_fma_f32 v[24:25], v[24:25], s[46:47], v[204:205]      // 00000000A0DC: D3B04018 1F305D18
	v_pk_fma_f32 v[26:27], v[26:27], s[46:47], v[204:205]      // 00000000A0E4: D3B0401A 1F305D1A
	v_exp_f32_e32 v24, v24                                     // 00000000A0EC: 7E304118
	v_exp_f32_e32 v25, v25                                     // 00000000A0F0: 7E324119
	v_exp_f32_e32 v26, v26                                     // 00000000A0F4: 7E34411A
	v_exp_f32_e32 v27, v27                                     // 00000000A0F8: 7E36411B
	v_pk_fma_f32 v[28:29], v[28:29], s[46:47], v[204:205]      // 00000000A0FC: D3B0401C 1F305D1C
	v_pk_fma_f32 v[30:31], v[30:31], s[46:47], v[204:205]      // 00000000A104: D3B0401E 1F305D1E
	v_exp_f32_e32 v28, v28                                     // 00000000A10C: 7E38411C
	v_exp_f32_e32 v29, v29                                     // 00000000A110: 7E3A411D
	v_exp_f32_e32 v30, v30                                     // 00000000A114: 7E3C411E
	v_exp_f32_e32 v31, v31                                     // 00000000A118: 7E3E411F
	v_pk_fma_f32 v[32:33], v[32:33], s[46:47], v[204:205]      // 00000000A11C: D3B04020 1F305D20
	v_pk_fma_f32 v[34:35], v[34:35], s[46:47], v[204:205]      // 00000000A124: D3B04022 1F305D22
	v_exp_f32_e32 v32, v32                                     // 00000000A12C: 7E404120
	v_exp_f32_e32 v33, v33                                     // 00000000A130: 7E424121
	v_exp_f32_e32 v34, v34                                     // 00000000A134: 7E444122
	v_exp_f32_e32 v35, v35                                     // 00000000A138: 7E464123
	v_max_f32_e32 v169, v184, v166                             // 00000000A13C: 17534DB8
	v_mul_f32_e64 v204, -s46, v169                             // 00000000A140: D10500CC 2003522E
	v_mov_b32_e32 v205, v204                                   // 00000000A148: 7F9A03CC
	v_pk_fma_f32 v[36:37], v[36:37], s[46:47], v[204:205]      // 00000000A14C: D3B04024 1F305D24
	v_pk_fma_f32 v[38:39], v[38:39], s[46:47], v[204:205]      // 00000000A154: D3B04026 1F305D26
	v_exp_f32_e32 v36, v36                                     // 00000000A15C: 7E484124
	v_exp_f32_e32 v37, v37                                     // 00000000A160: 7E4A4125
	v_exp_f32_e32 v38, v38                                     // 00000000A164: 7E4C4126
	v_exp_f32_e32 v39, v39                                     // 00000000A168: 7E4E4127
	v_pk_fma_f32 v[40:41], v[40:41], s[46:47], v[204:205]      // 00000000A16C: D3B04028 1F305D28
	v_pk_fma_f32 v[42:43], v[42:43], s[46:47], v[204:205]      // 00000000A174: D3B0402A 1F305D2A
	v_exp_f32_e32 v40, v40                                     // 00000000A17C: 7E504128
	v_exp_f32_e32 v41, v41                                     // 00000000A180: 7E524129
	v_exp_f32_e32 v42, v42                                     // 00000000A184: 7E54412A
	v_exp_f32_e32 v43, v43                                     // 00000000A188: 7E56412B
	v_pk_fma_f32 v[44:45], v[44:45], s[46:47], v[204:205]      // 00000000A18C: D3B0402C 1F305D2C
	v_pk_fma_f32 v[46:47], v[46:47], s[46:47], v[204:205]      // 00000000A194: D3B0402E 1F305D2E
	v_exp_f32_e32 v44, v44                                     // 00000000A19C: 7E58412C
	v_exp_f32_e32 v45, v45                                     // 00000000A1A0: 7E5A412D
	v_exp_f32_e32 v46, v46                                     // 00000000A1A4: 7E5C412E
	v_exp_f32_e32 v47, v47                                     // 00000000A1A8: 7E5E412F
	v_pk_fma_f32 v[48:49], v[48:49], s[46:47], v[204:205]      // 00000000A1AC: D3B04030 1F305D30
	v_pk_fma_f32 v[50:51], v[50:51], s[46:47], v[204:205]      // 00000000A1B4: D3B04032 1F305D32
	v_exp_f32_e32 v48, v48                                     // 00000000A1BC: 7E604130
	v_exp_f32_e32 v49, v49                                     // 00000000A1C0: 7E624131
	v_exp_f32_e32 v50, v50                                     // 00000000A1C4: 7E644132
	v_exp_f32_e32 v51, v51                                     // 00000000A1C8: 7E664133
	v_mul_f32_dpp v52, v156, v4 row_newbcast:0 row_mask:0xf bank_mask:0xf// 00000000A1CC: 0A6808FA FF01509C
	v_mul_f32_dpp v53, v156, v5 row_newbcast:1 row_mask:0xf bank_mask:0xf// 00000000A1D4: 0A6A0AFA FF01519C
	v_mul_f32_dpp v54, v156, v6 row_newbcast:2 row_mask:0xf bank_mask:0xf// 00000000A1DC: 0A6C0CFA FF01529C
	v_mul_f32_dpp v55, v156, v7 row_newbcast:3 row_mask:0xf bank_mask:0xf// 00000000A1E4: 0A6E0EFA FF01539C
	v_mul_f32_dpp v56, v156, v8 row_newbcast:4 row_mask:0xf bank_mask:0xf// 00000000A1EC: 0A7010FA FF01549C
	v_mul_f32_dpp v57, v156, v9 row_newbcast:5 row_mask:0xf bank_mask:0xf// 00000000A1F4: 0A7212FA FF01559C
	v_mul_f32_dpp v58, v156, v10 row_newbcast:6 row_mask:0xf bank_mask:0xf// 00000000A1FC: 0A7414FA FF01569C
	v_mul_f32_dpp v59, v156, v11 row_newbcast:7 row_mask:0xf bank_mask:0xf// 00000000A204: 0A7616FA FF01579C
	v_mul_f32_dpp v60, v156, v12 row_newbcast:8 row_mask:0xf bank_mask:0xf// 00000000A20C: 0A7818FA FF01589C
	v_mul_f32_dpp v61, v156, v13 row_newbcast:9 row_mask:0xf bank_mask:0xf// 00000000A214: 0A7A1AFA FF01599C
	v_mul_f32_dpp v62, v156, v14 row_newbcast:10 row_mask:0xf bank_mask:0xf// 00000000A21C: 0A7C1CFA FF015A9C
	v_mul_f32_dpp v63, v156, v15 row_newbcast:11 row_mask:0xf bank_mask:0xf// 00000000A224: 0A7E1EFA FF015B9C
	v_mul_f32_dpp v64, v156, v16 row_newbcast:12 row_mask:0xf bank_mask:0xf// 00000000A22C: 0A8020FA FF015C9C
	v_mul_f32_dpp v65, v156, v17 row_newbcast:13 row_mask:0xf bank_mask:0xf// 00000000A234: 0A8222FA FF015D9C
	v_mul_f32_dpp v66, v156, v18 row_newbcast:14 row_mask:0xf bank_mask:0xf// 00000000A23C: 0A8424FA FF015E9C
	v_mul_f32_dpp v67, v156, v19 row_newbcast:15 row_mask:0xf bank_mask:0xf// 00000000A244: 0A8626FA FF015F9C
	v_mul_f32_dpp v68, v156, v20 row_newbcast:0 row_mask:0xf bank_mask:0xf// 00000000A24C: 0A8828FA FF01509C
	v_mul_f32_dpp v69, v156, v21 row_newbcast:1 row_mask:0xf bank_mask:0xf// 00000000A254: 0A8A2AFA FF01519C
	v_mul_f32_dpp v70, v156, v22 row_newbcast:2 row_mask:0xf bank_mask:0xf// 00000000A25C: 0A8C2CFA FF01529C
	v_mul_f32_dpp v71, v156, v23 row_newbcast:3 row_mask:0xf bank_mask:0xf// 00000000A264: 0A8E2EFA FF01539C
	v_mul_f32_dpp v72, v156, v24 row_newbcast:4 row_mask:0xf bank_mask:0xf// 00000000A26C: 0A9030FA FF01549C
	v_mul_f32_dpp v73, v156, v25 row_newbcast:5 row_mask:0xf bank_mask:0xf// 00000000A274: 0A9232FA FF01559C
	v_mul_f32_dpp v74, v156, v26 row_newbcast:6 row_mask:0xf bank_mask:0xf// 00000000A27C: 0A9434FA FF01569C
	v_mul_f32_dpp v75, v156, v27 row_newbcast:7 row_mask:0xf bank_mask:0xf// 00000000A284: 0A9636FA FF01579C
	v_mul_f32_dpp v76, v156, v28 row_newbcast:8 row_mask:0xf bank_mask:0xf// 00000000A28C: 0A9838FA FF01589C
	v_mul_f32_dpp v77, v156, v29 row_newbcast:9 row_mask:0xf bank_mask:0xf// 00000000A294: 0A9A3AFA FF01599C
	v_mul_f32_dpp v78, v156, v30 row_newbcast:10 row_mask:0xf bank_mask:0xf// 00000000A29C: 0A9C3CFA FF015A9C
	v_mul_f32_dpp v79, v156, v31 row_newbcast:11 row_mask:0xf bank_mask:0xf// 00000000A2A4: 0A9E3EFA FF015B9C
	v_mul_f32_dpp v80, v156, v32 row_newbcast:12 row_mask:0xf bank_mask:0xf// 00000000A2AC: 0AA040FA FF015C9C
	v_mul_f32_dpp v81, v156, v33 row_newbcast:13 row_mask:0xf bank_mask:0xf// 00000000A2B4: 0AA242FA FF015D9C
	v_mul_f32_dpp v82, v156, v34 row_newbcast:14 row_mask:0xf bank_mask:0xf// 00000000A2BC: 0AA444FA FF015E9C
	v_mul_f32_dpp v83, v156, v35 row_newbcast:15 row_mask:0xf bank_mask:0xf// 00000000A2C4: 0AA646FA FF015F9C
	v_mul_f32_dpp v84, v156, v36 row_newbcast:0 row_mask:0xf bank_mask:0xf// 00000000A2CC: 0AA848FA FF01509C
	v_mul_f32_dpp v85, v156, v37 row_newbcast:1 row_mask:0xf bank_mask:0xf// 00000000A2D4: 0AAA4AFA FF01519C
	v_mul_f32_dpp v86, v156, v38 row_newbcast:2 row_mask:0xf bank_mask:0xf// 00000000A2DC: 0AAC4CFA FF01529C
	v_mul_f32_dpp v87, v156, v39 row_newbcast:3 row_mask:0xf bank_mask:0xf// 00000000A2E4: 0AAE4EFA FF01539C
	v_mul_f32_dpp v88, v156, v40 row_newbcast:4 row_mask:0xf bank_mask:0xf// 00000000A2EC: 0AB050FA FF01549C
	v_mul_f32_dpp v89, v156, v41 row_newbcast:5 row_mask:0xf bank_mask:0xf// 00000000A2F4: 0AB252FA FF01559C
	v_mul_f32_dpp v90, v156, v42 row_newbcast:6 row_mask:0xf bank_mask:0xf// 00000000A2FC: 0AB454FA FF01569C
	v_mul_f32_dpp v91, v156, v43 row_newbcast:7 row_mask:0xf bank_mask:0xf// 00000000A304: 0AB656FA FF01579C
	v_mul_f32_dpp v92, v156, v44 row_newbcast:8 row_mask:0xf bank_mask:0xf// 00000000A30C: 0AB858FA FF01589C
	v_mul_f32_dpp v93, v156, v45 row_newbcast:9 row_mask:0xf bank_mask:0xf// 00000000A314: 0ABA5AFA FF01599C
	v_mul_f32_dpp v94, v156, v46 row_newbcast:10 row_mask:0xf bank_mask:0xf// 00000000A31C: 0ABC5CFA FF015A9C
	v_mul_f32_dpp v95, v156, v47 row_newbcast:11 row_mask:0xf bank_mask:0xf// 00000000A324: 0ABE5EFA FF015B9C
	v_mul_f32_dpp v96, v156, v48 row_newbcast:12 row_mask:0xf bank_mask:0xf// 00000000A32C: 0AC060FA FF015C9C
	v_mul_f32_dpp v97, v156, v49 row_newbcast:13 row_mask:0xf bank_mask:0xf// 00000000A334: 0AC262FA FF015D9C
	v_mul_f32_dpp v98, v156, v50 row_newbcast:14 row_mask:0xf bank_mask:0xf// 00000000A33C: 0AC464FA FF015E9C
	v_mul_f32_dpp v99, v156, v51 row_newbcast:15 row_mask:0xf bank_mask:0xf// 00000000A344: 0AC666FA FF015F9C
	buffer_load_dword v155, v235, s[20:23], 0 offen            // 00000000A34C: E0501000 80059BEB
	v_sub_f32_e32 v170, v164, v167                             // 00000000A354: 05554FA4
	v_cmp_eq_u32_e64 s[98:99], v222, v164                      // 00000000A358: D0CA0062 000349DE
	v_cndmask_b32_e64 v170, v170, 0, s[98:99]                  // 00000000A360: D10000AA 018901AA
	v_mov_b32_e32 v164, v167                                   // 00000000A368: 7F4803A7
	v_mul_f32_e32 v170, s46, v170                              // 00000000A36C: 0B55542E
	v_exp_f32_e32 v170, v170                                   // 00000000A370: 7F5441AA
	v_sub_f32_e32 v172, v165, v168                             // 00000000A374: 055951A5
	v_cmp_eq_u32_e64 s[98:99], v222, v165                      // 00000000A378: D0CA0062 00034BDE
	v_cndmask_b32_e64 v172, v172, 0, s[98:99]                  // 00000000A380: D10000AC 018901AC
	v_mov_b32_e32 v165, v168                                   // 00000000A388: 7F4A03A8
	v_mul_f32_e32 v172, s46, v172                              // 00000000A38C: 0B59582E
	v_exp_f32_e32 v172, v172                                   // 00000000A390: 7F5841AC
	v_sub_f32_e32 v174, v166, v169                             // 00000000A394: 055D53A6
	v_cmp_eq_u32_e64 s[98:99], v222, v166                      // 00000000A398: D0CA0062 00034DDE
	v_cndmask_b32_e64 v174, v174, 0, s[98:99]                  // 00000000A3A0: D10000AE 018901AE
	v_mov_b32_e32 v166, v169                                   // 00000000A3A8: 7F4C03A9
	v_mul_f32_e32 v174, s46, v174                              // 00000000A3AC: 0B5D5C2E
	v_exp_f32_e32 v174, v174                                   // 00000000A3B0: 7F5C41AE
	v_mov_b32_e32 v171, v170                                   // 00000000A3B4: 7F5603AA
	v_mov_b32_e32 v173, v172                                   // 00000000A3B8: 7F5A03AC
	v_mov_b32_e32 v175, v174                                   // 00000000A3BC: 7F5E03AE
	s_waitcnt lgkmcnt(0)                                       // 00000000A3C0: BF8CC07F
	s_barrier                                                  // 00000000A3C4: BF8A0000
	buffer_load_dword v157, v236, s[24:27], 0 offen            // 00000000A3C8: E0501000 80069DEC
	v_mul_f32_e32 v176, v170, v176                             // 00000000A3D0: 0B6161AA
	v_mov_b32_e32 v177, 0                                      // 00000000A3D4: 7F620280
	v_pk_add_f32 v[176:177], v[4:5], v[176:177]                // 00000000A3D8: D3B240B0 18036104
	v_pk_add_f32 v[176:177], v[6:7], v[176:177]                // 00000000A3E0: D3B240B0 18036106
	v_pk_add_f32 v[176:177], v[8:9], v[176:177]                // 00000000A3E8: D3B240B0 18036108
	v_pk_add_f32 v[176:177], v[10:11], v[176:177]              // 00000000A3F0: D3B240B0 1803610A
	v_pk_add_f32 v[176:177], v[12:13], v[176:177]              // 00000000A3F8: D3B240B0 1803610C
	v_pk_add_f32 v[176:177], v[14:15], v[176:177]              // 00000000A400: D3B240B0 1803610E
	v_pk_add_f32 v[176:177], v[16:17], v[176:177]              // 00000000A408: D3B240B0 18036110
	v_pk_add_f32 v[176:177], v[18:19], v[176:177]              // 00000000A410: D3B240B0 18036112
	v_add_f32_e32 v176, v177, v176                             // 00000000A418: 036161B1
	v_mul_f32_e32 v178, v172, v178                             // 00000000A41C: 0B6565AC
	v_mov_b32_e32 v179, 0                                      // 00000000A420: 7F660280
	v_pk_add_f32 v[178:179], v[20:21], v[178:179]              // 00000000A424: D3B240B2 18036514
	v_pk_add_f32 v[178:179], v[22:23], v[178:179]              // 00000000A42C: D3B240B2 18036516
	v_pk_add_f32 v[178:179], v[24:25], v[178:179]              // 00000000A434: D3B240B2 18036518
	v_pk_add_f32 v[178:179], v[26:27], v[178:179]              // 00000000A43C: D3B240B2 1803651A
	v_pk_add_f32 v[178:179], v[28:29], v[178:179]              // 00000000A444: D3B240B2 1803651C
	v_pk_add_f32 v[178:179], v[30:31], v[178:179]              // 00000000A44C: D3B240B2 1803651E
	v_pk_add_f32 v[178:179], v[32:33], v[178:179]              // 00000000A454: D3B240B2 18036520
	v_pk_add_f32 v[178:179], v[34:35], v[178:179]              // 00000000A45C: D3B240B2 18036522
	v_add_f32_e32 v178, v179, v178                             // 00000000A464: 036565B3
	v_mul_f32_e32 v180, v174, v180                             // 00000000A468: 0B6969AE
	v_mov_b32_e32 v181, 0                                      // 00000000A46C: 7F6A0280
	v_pk_add_f32 v[180:181], v[36:37], v[180:181]              // 00000000A470: D3B240B4 18036924
	v_pk_add_f32 v[180:181], v[38:39], v[180:181]              // 00000000A478: D3B240B4 18036926
	v_pk_add_f32 v[180:181], v[40:41], v[180:181]              // 00000000A480: D3B240B4 18036928
	v_pk_add_f32 v[180:181], v[42:43], v[180:181]              // 00000000A488: D3B240B4 1803692A
	v_pk_add_f32 v[180:181], v[44:45], v[180:181]              // 00000000A490: D3B240B4 1803692C
	v_pk_add_f32 v[180:181], v[46:47], v[180:181]              // 00000000A498: D3B240B4 1803692E
	v_pk_add_f32 v[180:181], v[48:49], v[180:181]              // 00000000A4A0: D3B240B4 18036930
	v_pk_add_f32 v[180:181], v[50:51], v[180:181]              // 00000000A4A8: D3B240B4 18036932
	v_add_f32_e32 v180, v181, v180                             // 00000000A4B0: 036969B5
	s_waitcnt lgkmcnt(0)                                       // 00000000A4B4: BF8CC07F
	v_sub_f32_e32 v182, v182, v164                             // 00000000A4B8: 056D49B6
	v_sub_f32_e32 v183, v183, v165                             // 00000000A4BC: 056F4BB7
	v_sub_f32_e32 v184, v184, v166                             // 00000000A4C0: 05714DB8
	v_mul_f32_e32 v182, s46, v182                              // 00000000A4C4: 0B6D6C2E
	v_mul_f32_e32 v183, s46, v183                              // 00000000A4C8: 0B6F6E2E
	v_mul_f32_e32 v184, s46, v184                              // 00000000A4CC: 0B71702E
	v_exp_f32_e32 v182, v182                                   // 00000000A4D0: 7F6C41B6
	v_exp_f32_e32 v183, v183                                   // 00000000A4D4: 7F6E41B7
	v_exp_f32_e32 v184, v184                                   // 00000000A4D8: 7F7041B8
	v_mul_f32_e32 v182, v156, v182                             // 00000000A4DC: 0B6D6D9C
	v_mul_f32_e32 v183, v156, v183                             // 00000000A4E0: 0B6F6F9C
	v_mul_f32_e32 v184, v156, v184                             // 00000000A4E4: 0B71719C
	v_add_f32_e32 v182, 0x3089705f, v182                       // 00000000A4E8: 036D6CFF 3089705F
	v_add_f32_e32 v183, 0x3089705f, v183                       // 00000000A4F0: 036F6EFF 3089705F
	v_add_f32_e32 v184, 0x3089705f, v184                       // 00000000A4F8: 037170FF 3089705F
	v_rcp_f32_e32 v182, v182                                   // 00000000A500: 7F6C45B6
	v_rcp_f32_e32 v183, v183                                   // 00000000A504: 7F6E45B7
	v_rcp_f32_e32 v184, v184                                   // 00000000A508: 7F7045B8
	v_mul_f32_e32 v182, 0x43700000, v182                       // 00000000A50C: 0B6D6CFF 43700000
	v_mul_f32_e32 v183, 0x43700000, v183                       // 00000000A514: 0B6F6EFF 43700000
	v_mul_f32_e32 v184, 0x43700000, v184                       // 00000000A51C: 0B7170FF 43700000
	v_mov_b32_e32 v186, v184                                   // 00000000A524: 7F7403B8
	v_mov_b32_e32 v187, v184                                   // 00000000A528: 7F7603B8
	v_mov_b32_e32 v184, v183                                   // 00000000A52C: 7F7003B7
	v_mov_b32_e32 v185, v183                                   // 00000000A530: 7F7203B7
	v_mov_b32_e32 v183, v182                                   // 00000000A534: 7F6E03B6
	v_pk_mul_f32 v[4:5], v[182:183], v[52:53]                  // 00000000A538: D3B14004 180269B6
	v_pk_mul_f32 v[6:7], v[182:183], v[54:55]                  // 00000000A540: D3B14006 18026DB6
	v_pk_mul_f32 v[8:9], v[182:183], v[56:57]                  // 00000000A548: D3B14008 180271B6
	v_pk_mul_f32 v[10:11], v[182:183], v[58:59]                // 00000000A550: D3B1400A 180275B6
	v_pk_mul_f32 v[12:13], v[182:183], v[60:61]                // 00000000A558: D3B1400C 180279B6
	v_pk_mul_f32 v[14:15], v[182:183], v[62:63]                // 00000000A560: D3B1400E 18027DB6
	v_pk_mul_f32 v[16:17], v[182:183], v[64:65]                // 00000000A568: D3B14010 180281B6
	v_pk_mul_f32 v[18:19], v[182:183], v[66:67]                // 00000000A570: D3B14012 180285B6
	v_pk_mul_f32 v[20:21], v[184:185], v[68:69]                // 00000000A578: D3B14014 180289B8
	v_pk_mul_f32 v[22:23], v[184:185], v[70:71]                // 00000000A580: D3B14016 18028DB8
	v_pk_mul_f32 v[24:25], v[184:185], v[72:73]                // 00000000A588: D3B14018 180291B8
	v_pk_mul_f32 v[26:27], v[184:185], v[74:75]                // 00000000A590: D3B1401A 180295B8
	v_pk_mul_f32 v[28:29], v[184:185], v[76:77]                // 00000000A598: D3B1401C 180299B8
	v_pk_mul_f32 v[30:31], v[184:185], v[78:79]                // 00000000A5A0: D3B1401E 18029DB8
	v_pk_mul_f32 v[32:33], v[184:185], v[80:81]                // 00000000A5A8: D3B14020 1802A1B8
	v_pk_mul_f32 v[34:35], v[184:185], v[82:83]                // 00000000A5B0: D3B14022 1802A5B8
	v_pk_mul_f32 v[36:37], v[186:187], v[84:85]                // 00000000A5B8: D3B14024 1802A9BA
	v_pk_mul_f32 v[38:39], v[186:187], v[86:87]                // 00000000A5C0: D3B14026 1802ADBA
	v_pk_mul_f32 v[40:41], v[186:187], v[88:89]                // 00000000A5C8: D3B14028 1802B1BA
	v_pk_mul_f32 v[42:43], v[186:187], v[90:91]                // 00000000A5D0: D3B1402A 1802B5BA
	v_pk_mul_f32 v[44:45], v[186:187], v[92:93]                // 00000000A5D8: D3B1402C 1802B9BA
	v_pk_mul_f32 v[46:47], v[186:187], v[94:95]                // 00000000A5E0: D3B1402E 1802BDBA
	v_pk_mul_f32 v[48:49], v[186:187], v[96:97]                // 00000000A5E8: D3B14030 1802C1BA
	v_pk_mul_f32 v[50:51], v[186:187], v[98:99]                // 00000000A5F0: D3B14032 1802C5BA
	v_cvt_pk_fp8_f32 v4, v4, v5                                // 00000000A5F8: D2A20004 00020B04
	v_cvt_pk_fp8_f32 v4, v6, v7 op_sel:[0,0,1]                 // 00000000A600: D2A24004 00020F06
	v_cvt_pk_fp8_f32 v5, v8, v9                                // 00000000A608: D2A20005 00021308
	v_cvt_pk_fp8_f32 v5, v10, v11 op_sel:[0,0,1]               // 00000000A610: D2A24005 0002170A
	v_cvt_pk_fp8_f32 v6, v12, v13                              // 00000000A618: D2A20006 00021B0C
	v_cvt_pk_fp8_f32 v6, v14, v15 op_sel:[0,0,1]               // 00000000A620: D2A24006 00021F0E
	v_cvt_pk_fp8_f32 v7, v16, v17                              // 00000000A628: D2A20007 00022310
	v_cvt_pk_fp8_f32 v7, v18, v19 op_sel:[0,0,1]               // 00000000A630: D2A24007 00022712
	v_cvt_pk_fp8_f32 v8, v20, v21                              // 00000000A638: D2A20008 00022B14
	v_cvt_pk_fp8_f32 v8, v22, v23 op_sel:[0,0,1]               // 00000000A640: D2A24008 00022F16
	v_cvt_pk_fp8_f32 v9, v24, v25                              // 00000000A648: D2A20009 00023318
	v_cvt_pk_fp8_f32 v9, v26, v27 op_sel:[0,0,1]               // 00000000A650: D2A24009 0002371A
	v_cvt_pk_fp8_f32 v10, v28, v29                             // 00000000A658: D2A2000A 00023B1C
	v_cvt_pk_fp8_f32 v10, v30, v31 op_sel:[0,0,1]              // 00000000A660: D2A2400A 00023F1E
	v_cvt_pk_fp8_f32 v11, v32, v33                             // 00000000A668: D2A2000B 00024320
	v_cvt_pk_fp8_f32 v11, v34, v35 op_sel:[0,0,1]              // 00000000A670: D2A2400B 00024722
	v_cvt_pk_fp8_f32 v12, v36, v37                             // 00000000A678: D2A2000C 00024B24
	v_cvt_pk_fp8_f32 v12, v38, v39 op_sel:[0,0,1]              // 00000000A680: D2A2400C 00024F26
	v_cvt_pk_fp8_f32 v13, v40, v41                             // 00000000A688: D2A2000D 00025328
	v_cvt_pk_fp8_f32 v13, v42, v43 op_sel:[0,0,1]              // 00000000A690: D2A2400D 0002572A
	v_cvt_pk_fp8_f32 v14, v44, v45                             // 00000000A698: D2A2000E 00025B2C
	v_cvt_pk_fp8_f32 v14, v46, v47 op_sel:[0,0,1]              // 00000000A6A0: D2A2400E 00025F2E
	v_cvt_pk_fp8_f32 v15, v48, v49                             // 00000000A6A8: D2A2000F 00026330
	v_cvt_pk_fp8_f32 v15, v50, v51 op_sel:[0,0,1]              // 00000000A6B0: D2A2400F 00026732
	ds_write_b32 v251, v4 offset:8192                          // 00000000A6B8: D81A2000 000004FB
	ds_write_b32 v251, v5 offset:9216                          // 00000000A6C0: D81A2400 000005FB
	ds_write_b32 v251, v6 offset:10240                         // 00000000A6C8: D81A2800 000006FB
	ds_write_b32 v251, v7 offset:11264                         // 00000000A6D0: D81A2C00 000007FB
	ds_write_b32 v251, v8 offset:12288                         // 00000000A6D8: D81A3000 000008FB
	ds_write_b32 v251, v9 offset:13312                         // 00000000A6E0: D81A3400 000009FB
	ds_write_b32 v251, v10 offset:14336                        // 00000000A6E8: D81A3800 00000AFB
	ds_write_b32 v251, v11 offset:15360                        // 00000000A6F0: D81A3C00 00000BFB
	ds_write_b32 v251, v12 offset:16384                        // 00000000A6F8: D81A4000 00000CFB
	ds_write_b32 v251, v13 offset:17408                        // 00000000A700: D81A4400 00000DFB
	ds_write_b32 v251, v14 offset:18432                        // 00000000A708: D81A4800 00000EFB
	ds_write_b32 v251, v15 offset:19456                        // 00000000A710: D81A4C00 00000FFB
	v_rcp_f32_e32 v158, v182                                   // 00000000A718: 7F3C45B6
	v_rcp_f32_e32 v160, v184                                   // 00000000A71C: 7F4045B8
	v_rcp_f32_e32 v162, v186                                   // 00000000A720: 7F4445BA
	v_mov_b32_e32 v159, v158                                   // 00000000A724: 7F3E039E
	v_mov_b32_e32 v161, v160                                   // 00000000A728: 7F4203A0
	v_mov_b32_e32 v163, v162                                   // 00000000A72C: 7F4603A2
	v_pk_add_f32 v[124:125], v[124:125], v[100:101]            // 00000000A730: D3B2407C 1802C97C
	v_pk_add_f32 v[126:127], v[126:127], v[102:103]            // 00000000A738: D3B2407E 1802CD7E
	v_pk_add_f32 v[128:129], v[128:129], v[104:105]            // 00000000A740: D3B24080 1802D180
	v_pk_add_f32 v[130:131], v[130:131], v[106:107]            // 00000000A748: D3B24082 1802D582
	v_pk_add_f32 v[132:133], v[132:133], v[108:109]            // 00000000A750: D3B24084 1802D984
	v_pk_add_f32 v[134:135], v[134:135], v[110:111]            // 00000000A758: D3B24086 1802DD86
	v_pk_add_f32 v[136:137], v[136:137], v[112:113]            // 00000000A760: D3B24088 1802E188
	v_pk_add_f32 v[138:139], v[138:139], v[114:115]            // 00000000A768: D3B2408A 1802E58A
	v_pk_add_f32 v[140:141], v[140:141], v[116:117]            // 00000000A770: D3B2408C 1802E98C
	v_pk_add_f32 v[142:143], v[142:143], v[118:119]            // 00000000A778: D3B2408E 1802ED8E
	v_pk_add_f32 v[144:145], v[144:145], v[120:121]            // 00000000A780: D3B24090 1802F190
	v_pk_add_f32 v[146:147], v[146:147], v[122:123]            // 00000000A788: D3B24092 1802F592
	s_waitcnt lgkmcnt(0)                                       // 00000000A790: BF8CC07F
	s_barrier                                                  // 00000000A794: BF8A0000
	ds_read_b128 v[4:7], v252 offset:8192                      // 00000000A798: D9FE2000 040000FC
	ds_read_b128 v[8:11], v252 offset:9216                     // 00000000A7A0: D9FE2400 080000FC
	ds_read_b128 v[12:15], v252 offset:10240                   // 00000000A7A8: D9FE2800 0C0000FC
	ds_read_b128 v[16:19], v252 offset:11264                   // 00000000A7B0: D9FE2C00 100000FC
	ds_read_b128 v[20:23], v252 offset:12288                   // 00000000A7B8: D9FE3000 140000FC
	ds_read_b128 v[24:27], v252 offset:13312                   // 00000000A7C0: D9FE3400 180000FC
	ds_read_b128 v[28:31], v252 offset:14336                   // 00000000A7C8: D9FE3800 1C0000FC
	ds_read_b128 v[32:35], v252 offset:15360                   // 00000000A7D0: D9FE3C00 200000FC
	ds_read_b128 v[36:39], v252 offset:16384                   // 00000000A7D8: D9FE4000 240000FC
	ds_read_b128 v[40:43], v252 offset:17408                   // 00000000A7E0: D9FE4400 280000FC
	ds_read_b128 v[44:47], v252 offset:18432                   // 00000000A7E8: D9FE4800 2C0000FC
	ds_read_b128 v[48:51], v252 offset:19456                   // 00000000A7F0: D9FE4C00 300000FC
	s_waitcnt vmcnt(10)                                        // 00000000A7F8: BF8C0F7A
	s_waitcnt lgkmcnt(11)                                      // 00000000A7FC: BF8CCB7F
	v_mfma_f32_16x16x32_fp8_fp8 v[100:103], a[88:89], v[4:5], 0// 00000000A800: D3F30064 0A020958
	v_mfma_f32_16x16x32_fp8_fp8 v[104:107], a[104:105], v[4:5], 0// 00000000A808: D3F30068 0A020968
	v_mfma_f32_16x16x32_fp8_fp8 v[100:103], a[90:91], v[6:7], v[100:103]// 00000000A810: D3F30064 0D920D5A
	buffer_load_dwordx4 a[120:123], v231, s[16:19], 0 offen    // 00000000A818: E05C1000 808478E7
	v_mfma_f32_16x16x32_fp8_fp8 v[104:107], a[106:107], v[6:7], v[104:107]// 00000000A820: D3F30068 0DA20D6A
	s_waitcnt lgkmcnt(10)                                      // 00000000A828: BF8CCA7F
	v_mfma_f32_16x16x32_fp8_fp8 v[100:103], a[92:93], v[8:9], v[100:103]// 00000000A82C: D3F30064 0D92115C
	v_mfma_f32_16x16x32_fp8_fp8 v[104:107], a[108:109], v[8:9], v[104:107]// 00000000A834: D3F30068 0DA2116C
	v_mfma_f32_16x16x32_fp8_fp8 v[100:103], a[94:95], v[10:11], v[100:103]// 00000000A83C: D3F30064 0D92155E
	buffer_load_dwordx4 a[124:127], v232, s[16:19], 0 offen    // 00000000A844: E05C1000 80847CE8
	v_mfma_f32_16x16x32_fp8_fp8 v[104:107], a[110:111], v[10:11], v[104:107]// 00000000A84C: D3F30068 0DA2156E
	s_waitcnt lgkmcnt(9)                                       // 00000000A854: BF8CC97F
	v_mfma_f32_16x16x32_fp8_fp8 v[100:103], a[96:97], v[12:13], v[100:103]// 00000000A858: D3F30064 0D921960
	v_mfma_f32_16x16x32_fp8_fp8 v[104:107], a[112:113], v[12:13], v[104:107]// 00000000A860: D3F30068 0DA21970
	v_mfma_f32_16x16x32_fp8_fp8 v[100:103], a[98:99], v[14:15], v[100:103]// 00000000A868: D3F30064 0D921D62
	buffer_load_dwordx4 a[128:131], v233, s[16:19], 0 offen    // 00000000A870: E05C1000 808480E9
	v_mfma_f32_16x16x32_fp8_fp8 v[104:107], a[114:115], v[14:15], v[104:107]// 00000000A878: D3F30068 0DA21D72
	s_waitcnt lgkmcnt(8)                                       // 00000000A880: BF8CC87F
	v_mfma_f32_16x16x32_fp8_fp8 v[100:103], a[100:101], v[16:17], v[100:103]// 00000000A884: D3F30064 0D922164
	v_mfma_f32_16x16x32_fp8_fp8 v[104:107], a[116:117], v[16:17], v[104:107]// 00000000A88C: D3F30068 0DA22174
	v_mfma_f32_16x16x32_fp8_fp8 v[100:103], a[102:103], v[18:19], v[100:103]// 00000000A894: D3F30064 0D922566
	buffer_load_dwordx4 a[132:135], v234, s[16:19], 0 offen    // 00000000A89C: E05C1000 808484EA
	v_mfma_f32_16x16x32_fp8_fp8 v[104:107], a[118:119], v[18:19], v[104:107]// 00000000A8A4: D3F30068 0DA22576
	s_waitcnt lgkmcnt(7)                                       // 00000000A8AC: BF8CC77F
	v_mfma_f32_16x16x32_fp8_fp8 v[108:111], a[88:89], v[20:21], 0// 00000000A8B0: D3F3006C 0A022958
	v_mfma_f32_16x16x32_fp8_fp8 v[112:115], a[104:105], v[20:21], 0// 00000000A8B8: D3F30070 0A022968
	v_mfma_f32_16x16x32_fp8_fp8 v[108:111], a[90:91], v[22:23], v[108:111]// 00000000A8C0: D3F3006C 0DB22D5A
	buffer_load_dwordx4 a[136:139], v231, s[16:19], 0 offen offset:1024// 00000000A8C8: E05C1400 808488E7
	v_mfma_f32_16x16x32_fp8_fp8 v[112:115], a[106:107], v[22:23], v[112:115]// 00000000A8D0: D3F30070 0DC22D6A
	s_waitcnt lgkmcnt(6)                                       // 00000000A8D8: BF8CC67F
	v_mfma_f32_16x16x32_fp8_fp8 v[108:111], a[92:93], v[24:25], v[108:111]// 00000000A8DC: D3F3006C 0DB2315C
	v_mfma_f32_16x16x32_fp8_fp8 v[112:115], a[108:109], v[24:25], v[112:115]// 00000000A8E4: D3F30070 0DC2316C
	v_mfma_f32_16x16x32_fp8_fp8 v[108:111], a[94:95], v[26:27], v[108:111]// 00000000A8EC: D3F3006C 0DB2355E
	buffer_load_dwordx4 a[140:143], v232, s[16:19], 0 offen offset:1024// 00000000A8F4: E05C1400 80848CE8
	v_mfma_f32_16x16x32_fp8_fp8 v[112:115], a[110:111], v[26:27], v[112:115]// 00000000A8FC: D3F30070 0DC2356E
	s_waitcnt lgkmcnt(5)                                       // 00000000A904: BF8CC57F
	v_mfma_f32_16x16x32_fp8_fp8 v[108:111], a[96:97], v[28:29], v[108:111]// 00000000A908: D3F3006C 0DB23960
	v_mfma_f32_16x16x32_fp8_fp8 v[112:115], a[112:113], v[28:29], v[112:115]// 00000000A910: D3F30070 0DC23970
	v_mfma_f32_16x16x32_fp8_fp8 v[108:111], a[98:99], v[30:31], v[108:111]// 00000000A918: D3F3006C 0DB23D62
	buffer_load_dwordx4 a[144:147], v233, s[16:19], 0 offen offset:1024// 00000000A920: E05C1400 808490E9
	v_mfma_f32_16x16x32_fp8_fp8 v[112:115], a[114:115], v[30:31], v[112:115]// 00000000A928: D3F30070 0DC23D72
	s_waitcnt lgkmcnt(4)                                       // 00000000A930: BF8CC47F
	v_mfma_f32_16x16x32_fp8_fp8 v[108:111], a[100:101], v[32:33], v[108:111]// 00000000A934: D3F3006C 0DB24164
	v_mfma_f32_16x16x32_fp8_fp8 v[112:115], a[116:117], v[32:33], v[112:115]// 00000000A93C: D3F30070 0DC24174
	v_mfma_f32_16x16x32_fp8_fp8 v[108:111], a[102:103], v[34:35], v[108:111]// 00000000A944: D3F3006C 0DB24566
	buffer_load_dwordx4 a[148:151], v234, s[16:19], 0 offen offset:1024// 00000000A94C: E05C1400 808494EA
	v_mfma_f32_16x16x32_fp8_fp8 v[112:115], a[118:119], v[34:35], v[112:115]// 00000000A954: D3F30070 0DC24576
	s_waitcnt lgkmcnt(3)                                       // 00000000A95C: BF8CC37F
	v_mfma_f32_16x16x32_fp8_fp8 v[116:119], a[88:89], v[36:37], 0// 00000000A960: D3F30074 0A024958
	v_mfma_f32_16x16x32_fp8_fp8 v[120:123], a[104:105], v[36:37], 0// 00000000A968: D3F30078 0A024968
	v_mfma_f32_16x16x32_fp8_fp8 v[116:119], a[90:91], v[38:39], v[116:119]// 00000000A970: D3F30074 0DD24D5A
	v_mfma_f32_16x16x32_fp8_fp8 v[120:123], a[106:107], v[38:39], v[120:123]// 00000000A978: D3F30078 0DE24D6A
	s_waitcnt lgkmcnt(2)                                       // 00000000A980: BF8CC27F
	v_mfma_f32_16x16x32_fp8_fp8 v[116:119], a[92:93], v[40:41], v[116:119]// 00000000A984: D3F30074 0DD2515C
	v_mfma_f32_16x16x32_fp8_fp8 v[120:123], a[108:109], v[40:41], v[120:123]// 00000000A98C: D3F30078 0DE2516C
	v_mfma_f32_16x16x32_fp8_fp8 v[116:119], a[94:95], v[42:43], v[116:119]// 00000000A994: D3F30074 0DD2555E
	v_mfma_f32_16x16x32_fp8_fp8 v[120:123], a[110:111], v[42:43], v[120:123]// 00000000A99C: D3F30078 0DE2556E
	s_waitcnt lgkmcnt(1)                                       // 00000000A9A4: BF8CC17F
	v_mfma_f32_16x16x32_fp8_fp8 v[116:119], a[96:97], v[44:45], v[116:119]// 00000000A9A8: D3F30074 0DD25960
	v_mfma_f32_16x16x32_fp8_fp8 v[120:123], a[112:113], v[44:45], v[120:123]// 00000000A9B0: D3F30078 0DE25970
	v_mfma_f32_16x16x32_fp8_fp8 v[116:119], a[98:99], v[46:47], v[116:119]// 00000000A9B8: D3F30074 0DD25D62
	v_mfma_f32_16x16x32_fp8_fp8 v[120:123], a[114:115], v[46:47], v[120:123]// 00000000A9C0: D3F30078 0DE25D72
	s_waitcnt lgkmcnt(0)                                       // 00000000A9C8: BF8CC07F
	v_mfma_f32_16x16x32_fp8_fp8 v[116:119], a[100:101], v[48:49], v[116:119]// 00000000A9CC: D3F30074 0DD26164
	v_mfma_f32_16x16x32_fp8_fp8 v[120:123], a[116:117], v[48:49], v[120:123]// 00000000A9D4: D3F30078 0DE26174
	v_mfma_f32_16x16x32_fp8_fp8 v[116:119], a[102:103], v[50:51], v[116:119]// 00000000A9DC: D3F30074 0DD26566
	v_mfma_f32_16x16x32_fp8_fp8 v[120:123], a[118:119], v[50:51], v[120:123]// 00000000A9E4: D3F30078 0DE26576
	s_addk_i32 s64, 0x100                                      // 00000000A9EC: B7400100
	s_cmp_lt_i32 s64, s63                                      // 00000000A9F0: BF043F40
	s_cbranch_scc0 label_3ADF                                  // 00000000A9F4: BF8419E1
	s_waitcnt vmcnt(10)                                        // 00000000A9F8: BF8C0F7A
	v_mfma_f32_16x16x32_fp8_fp8 v[4:7], a[56:57], a[0:1], 0    // 00000000A9FC: D3F30004 1A020138
	s_add_u32 s12, s86, s69                                    // 00000000AA04: 800C4556
	s_addc_u32 s13, s87, 0                                     // 00000000AA08: 820D8057
	v_mfma_f32_16x16x32_fp8_fp8 v[4:7], a[58:59], a[2:3], v[4:7]// 00000000AA0C: D3F30004 1C12053A
	s_add_u32 s16, s88, s70                                    // 00000000AA14: 80104658
	s_addc_u32 s17, s89, 0                                     // 00000000AA18: 82118059
	v_mfma_f32_16x16x32_fp8_fp8 v[4:7], a[60:61], a[4:5], v[4:7]// 00000000AA1C: D3F30004 1C12093C
	buffer_load_dwordx4 a[24:27], v229, s[12:15], 0 offen      // 00000000AA24: E05C1000 808318E5
	v_mfma_f32_16x16x32_fp8_fp8 v[4:7], a[62:63], a[6:7], v[4:7]// 00000000AA2C: D3F30004 1C120D3E
	s_add_u32 s20, s90, s71                                    // 00000000AA34: 8014475A
	s_addc_u32 s21, s91, 0                                     // 00000000AA38: 8215805B
	v_mfma_f32_16x16x32_fp8_fp8 v[8:11], a[64:65], a[0:1], 0   // 00000000AA3C: D3F30008 1A020140
	s_add_u32 s24, s92, s71                                    // 00000000AA44: 8018475C
	s_addc_u32 s25, s93, 0                                     // 00000000AA48: 8219805D
	v_mfma_f32_16x16x32_fp8_fp8 v[8:11], a[66:67], a[2:3], v[8:11]// 00000000AA4C: D3F30008 1C220542
	s_add_u32 s69, s69, 0x1000                                 // 00000000AA54: 8045FF45 00001000
	s_add_u32 s70, s70, 0x8000                                 // 00000000AA5C: 8046FF46 00008000
	v_mfma_f32_16x16x32_fp8_fp8 v[8:11], a[68:69], a[4:5], v[8:11]// 00000000AA64: D3F30008 1C220944
	buffer_load_dwordx4 a[28:31], v230, s[12:15], 0 offen      // 00000000AA6C: E05C1000 80831CE6
	v_mfma_f32_16x16x32_fp8_fp8 v[8:11], a[70:71], a[6:7], v[8:11]// 00000000AA74: D3F30008 1C220D46
	v_mfma_f32_16x16x32_fp8_fp8 v[12:15], a[72:73], a[0:1], 0  // 00000000AA7C: D3F3000C 1A020148
	v_mfma_f32_16x16x32_fp8_fp8 v[12:15], a[74:75], a[2:3], v[12:15]// 00000000AA84: D3F3000C 1C32054A
	v_mfma_f32_16x16x32_fp8_fp8 v[12:15], a[76:77], a[4:5], v[12:15]// 00000000AA8C: D3F3000C 1C32094C
	buffer_load_dwordx4 a[32:35], v229, s[12:15], 0 offen offset:1024// 00000000AA94: E05C1400 808320E5
	v_mfma_f32_16x16x32_fp8_fp8 v[12:15], a[78:79], a[6:7], v[12:15]// 00000000AA9C: D3F3000C 1C320D4E
	v_mfma_f32_16x16x32_fp8_fp8 v[16:19], a[80:81], a[0:1], 0  // 00000000AAA4: D3F30010 1A020150
	v_mfma_f32_16x16x32_fp8_fp8 v[16:19], a[82:83], a[2:3], v[16:19]// 00000000AAAC: D3F30010 1C420552
	v_mfma_f32_16x16x32_fp8_fp8 v[16:19], a[84:85], a[4:5], v[16:19]// 00000000AAB4: D3F30010 1C420954
	buffer_load_dwordx4 a[36:39], v230, s[12:15], 0 offen offset:1024// 00000000AABC: E05C1400 808324E6
	v_mfma_f32_16x16x32_fp8_fp8 v[16:19], a[86:87], a[6:7], v[16:19]// 00000000AAC4: D3F30010 1C420D56
	v_mfma_f32_16x16x32_fp8_fp8 v[20:23], a[56:57], a[8:9], 0  // 00000000AACC: D3F30014 1A021138
	v_mfma_f32_16x16x32_fp8_fp8 v[20:23], a[58:59], a[10:11], v[20:23]// 00000000AAD4: D3F30014 1C52153A
	v_mfma_f32_16x16x32_fp8_fp8 v[20:23], a[60:61], a[12:13], v[20:23]// 00000000AADC: D3F30014 1C52193C
	buffer_load_dwordx4 a[40:43], v229, s[12:15], 0 offen offset:2048// 00000000AAE4: E05C1800 808328E5
	v_mfma_f32_16x16x32_fp8_fp8 v[20:23], a[62:63], a[14:15], v[20:23]// 00000000AAEC: D3F30014 1C521D3E
	v_mfma_f32_16x16x32_fp8_fp8 v[24:27], a[64:65], a[8:9], 0  // 00000000AAF4: D3F30018 1A021140
	v_mfma_f32_16x16x32_fp8_fp8 v[24:27], a[66:67], a[10:11], v[24:27]// 00000000AAFC: D3F30018 1C621542
	v_mfma_f32_16x16x32_fp8_fp8 v[24:27], a[68:69], a[12:13], v[24:27]// 00000000AB04: D3F30018 1C621944
	buffer_load_dwordx4 a[44:47], v230, s[12:15], 0 offen offset:2048// 00000000AB0C: E05C1800 80832CE6
	v_mfma_f32_16x16x32_fp8_fp8 v[24:27], a[70:71], a[14:15], v[24:27]// 00000000AB14: D3F30018 1C621D46
	v_mfma_f32_16x16x32_fp8_fp8 v[28:31], a[72:73], a[8:9], 0  // 00000000AB1C: D3F3001C 1A021148
	v_mfma_f32_16x16x32_fp8_fp8 v[28:31], a[74:75], a[10:11], v[28:31]// 00000000AB24: D3F3001C 1C72154A
	v_mfma_f32_16x16x32_fp8_fp8 v[28:31], a[76:77], a[12:13], v[28:31]// 00000000AB2C: D3F3001C 1C72194C
	buffer_load_dwordx4 a[48:51], v229, s[12:15], 0 offen offset:3072// 00000000AB34: E05C1C00 808330E5
	v_mfma_f32_16x16x32_fp8_fp8 v[28:31], a[78:79], a[14:15], v[28:31]// 00000000AB3C: D3F3001C 1C721D4E
	v_mfma_f32_16x16x32_fp8_fp8 v[32:35], a[80:81], a[8:9], 0  // 00000000AB44: D3F30020 1A021150
	v_mfma_f32_16x16x32_fp8_fp8 v[32:35], a[82:83], a[10:11], v[32:35]// 00000000AB4C: D3F30020 1C821552
	v_mfma_f32_16x16x32_fp8_fp8 v[32:35], a[84:85], a[12:13], v[32:35]// 00000000AB54: D3F30020 1C821954
	buffer_load_dwordx4 a[52:55], v230, s[12:15], 0 offen offset:3072// 00000000AB5C: E05C1C00 808334E6
	v_mfma_f32_16x16x32_fp8_fp8 v[32:35], a[86:87], a[14:15], v[32:35]// 00000000AB64: D3F30020 1C821D56
	v_mfma_f32_16x16x32_fp8_fp8 v[36:39], a[56:57], a[16:17], 0// 00000000AB6C: D3F30024 1A022138
	v_mfma_f32_16x16x32_fp8_fp8 v[36:39], a[58:59], a[18:19], v[36:39]// 00000000AB74: D3F30024 1C92253A
	v_mfma_f32_16x16x32_fp8_fp8 v[36:39], a[60:61], a[20:21], v[36:39]// 00000000AB7C: D3F30024 1C92293C
	v_mfma_f32_16x16x32_fp8_fp8 v[36:39], a[62:63], a[22:23], v[36:39]// 00000000AB84: D3F30024 1C922D3E
	v_mfma_f32_16x16x32_fp8_fp8 v[40:43], a[64:65], a[16:17], 0// 00000000AB8C: D3F30028 1A022140
	v_mfma_f32_16x16x32_fp8_fp8 v[40:43], a[66:67], a[18:19], v[40:43]// 00000000AB94: D3F30028 1CA22542
	v_mfma_f32_16x16x32_fp8_fp8 v[40:43], a[68:69], a[20:21], v[40:43]// 00000000AB9C: D3F30028 1CA22944
	v_mfma_f32_16x16x32_fp8_fp8 v[40:43], a[70:71], a[22:23], v[40:43]// 00000000ABA4: D3F30028 1CA22D46
	v_mfma_f32_16x16x32_fp8_fp8 v[44:47], a[72:73], a[16:17], 0// 00000000ABAC: D3F3002C 1A022148
	v_mfma_f32_16x16x32_fp8_fp8 v[44:47], a[74:75], a[18:19], v[44:47]// 00000000ABB4: D3F3002C 1CB2254A
	v_mfma_f32_16x16x32_fp8_fp8 v[44:47], a[76:77], a[20:21], v[44:47]// 00000000ABBC: D3F3002C 1CB2294C
	v_mfma_f32_16x16x32_fp8_fp8 v[44:47], a[78:79], a[22:23], v[44:47]// 00000000ABC4: D3F3002C 1CB22D4E
	v_mfma_f32_16x16x32_fp8_fp8 v[48:51], a[80:81], a[16:17], 0// 00000000ABCC: D3F30030 1A022150
	v_mfma_f32_16x16x32_fp8_fp8 v[48:51], a[82:83], a[18:19], v[48:51]// 00000000ABD4: D3F30030 1CC22552
	v_mfma_f32_16x16x32_fp8_fp8 v[48:51], a[84:85], a[20:21], v[48:51]// 00000000ABDC: D3F30030 1CC22954
	v_mfma_f32_16x16x32_fp8_fp8 v[48:51], a[86:87], a[22:23], v[48:51]// 00000000ABE4: D3F30030 1CC22D56
	s_waitcnt vmcnt(16)                                        // 00000000ABEC: BF8C4F70
	v_pk_mul_f32 v[4:5], v[148:149], v[4:5]                    // 00000000ABF0: D3B14004 18020994
	v_pk_mul_f32 v[6:7], v[148:149], v[6:7]                    // 00000000ABF8: D3B14006 18020D94
	v_mul_f32_dpp v4, v155, v4 row_newbcast:0 row_mask:0xf bank_mask:0xf// 00000000AC00: 0A0808FA FF01509B
	v_mul_f32_dpp v5, v155, v5 row_newbcast:1 row_mask:0xf bank_mask:0xf// 00000000AC08: 0A0A0AFA FF01519B
	v_mul_f32_dpp v6, v155, v6 row_newbcast:2 row_mask:0xf bank_mask:0xf// 00000000AC10: 0A0C0CFA FF01529B
	v_mul_f32_dpp v7, v155, v7 row_newbcast:3 row_mask:0xf bank_mask:0xf// 00000000AC18: 0A0E0EFA FF01539B
	v_pk_mul_f32 v[8:9], v[148:149], v[8:9]                    // 00000000AC20: D3B14008 18021194
	v_pk_mul_f32 v[10:11], v[148:149], v[10:11]                // 00000000AC28: D3B1400A 18021594
	v_mul_f32_dpp v8, v155, v8 row_newbcast:4 row_mask:0xf bank_mask:0xf// 00000000AC30: 0A1010FA FF01549B
	v_mul_f32_dpp v9, v155, v9 row_newbcast:5 row_mask:0xf bank_mask:0xf// 00000000AC38: 0A1212FA FF01559B
	v_mul_f32_dpp v10, v155, v10 row_newbcast:6 row_mask:0xf bank_mask:0xf// 00000000AC40: 0A1414FA FF01569B
	v_mul_f32_dpp v11, v155, v11 row_newbcast:7 row_mask:0xf bank_mask:0xf// 00000000AC48: 0A1616FA FF01579B
	v_pk_mul_f32 v[12:13], v[148:149], v[12:13]                // 00000000AC50: D3B1400C 18021994
	v_pk_mul_f32 v[14:15], v[148:149], v[14:15]                // 00000000AC58: D3B1400E 18021D94
	v_mul_f32_dpp v12, v155, v12 row_newbcast:8 row_mask:0xf bank_mask:0xf// 00000000AC60: 0A1818FA FF01589B
	v_mul_f32_dpp v13, v155, v13 row_newbcast:9 row_mask:0xf bank_mask:0xf// 00000000AC68: 0A1A1AFA FF01599B
	v_mul_f32_dpp v14, v155, v14 row_newbcast:10 row_mask:0xf bank_mask:0xf// 00000000AC70: 0A1C1CFA FF015A9B
	v_mul_f32_dpp v15, v155, v15 row_newbcast:11 row_mask:0xf bank_mask:0xf// 00000000AC78: 0A1E1EFA FF015B9B
	v_pk_mul_f32 v[16:17], v[148:149], v[16:17]                // 00000000AC80: D3B14010 18022194
	v_pk_mul_f32 v[18:19], v[148:149], v[18:19]                // 00000000AC88: D3B14012 18022594
	v_mul_f32_dpp v16, v155, v16 row_newbcast:12 row_mask:0xf bank_mask:0xf// 00000000AC90: 0A2020FA FF015C9B
	v_mul_f32_dpp v17, v155, v17 row_newbcast:13 row_mask:0xf bank_mask:0xf// 00000000AC98: 0A2222FA FF015D9B
	v_mul_f32_dpp v18, v155, v18 row_newbcast:14 row_mask:0xf bank_mask:0xf// 00000000ACA0: 0A2424FA FF015E9B
	v_mul_f32_dpp v19, v155, v19 row_newbcast:15 row_mask:0xf bank_mask:0xf// 00000000ACA8: 0A2626FA FF015F9B
	v_pk_mul_f32 v[20:21], v[150:151], v[20:21]                // 00000000ACB0: D3B14014 18022996
	v_pk_mul_f32 v[22:23], v[150:151], v[22:23]                // 00000000ACB8: D3B14016 18022D96
	v_mul_f32_dpp v20, v155, v20 row_newbcast:0 row_mask:0xf bank_mask:0xf// 00000000ACC0: 0A2828FA FF01509B
	v_mul_f32_dpp v21, v155, v21 row_newbcast:1 row_mask:0xf bank_mask:0xf// 00000000ACC8: 0A2A2AFA FF01519B
	v_mul_f32_dpp v22, v155, v22 row_newbcast:2 row_mask:0xf bank_mask:0xf// 00000000ACD0: 0A2C2CFA FF01529B
	v_mul_f32_dpp v23, v155, v23 row_newbcast:3 row_mask:0xf bank_mask:0xf// 00000000ACD8: 0A2E2EFA FF01539B
	v_pk_mul_f32 v[24:25], v[150:151], v[24:25]                // 00000000ACE0: D3B14018 18023196
	v_pk_mul_f32 v[26:27], v[150:151], v[26:27]                // 00000000ACE8: D3B1401A 18023596
	v_mul_f32_dpp v24, v155, v24 row_newbcast:4 row_mask:0xf bank_mask:0xf// 00000000ACF0: 0A3030FA FF01549B
	v_mul_f32_dpp v25, v155, v25 row_newbcast:5 row_mask:0xf bank_mask:0xf// 00000000ACF8: 0A3232FA FF01559B
	v_mul_f32_dpp v26, v155, v26 row_newbcast:6 row_mask:0xf bank_mask:0xf// 00000000AD00: 0A3434FA FF01569B
	v_mul_f32_dpp v27, v155, v27 row_newbcast:7 row_mask:0xf bank_mask:0xf// 00000000AD08: 0A3636FA FF01579B
	v_pk_mul_f32 v[28:29], v[150:151], v[28:29]                // 00000000AD10: D3B1401C 18023996
	v_pk_mul_f32 v[30:31], v[150:151], v[30:31]                // 00000000AD18: D3B1401E 18023D96
	v_mul_f32_dpp v28, v155, v28 row_newbcast:8 row_mask:0xf bank_mask:0xf// 00000000AD20: 0A3838FA FF01589B
	v_mul_f32_dpp v29, v155, v29 row_newbcast:9 row_mask:0xf bank_mask:0xf// 00000000AD28: 0A3A3AFA FF01599B
	v_mul_f32_dpp v30, v155, v30 row_newbcast:10 row_mask:0xf bank_mask:0xf// 00000000AD30: 0A3C3CFA FF015A9B
	v_mul_f32_dpp v31, v155, v31 row_newbcast:11 row_mask:0xf bank_mask:0xf// 00000000AD38: 0A3E3EFA FF015B9B
	v_pk_mul_f32 v[32:33], v[150:151], v[32:33]                // 00000000AD40: D3B14020 18024196
	v_pk_mul_f32 v[34:35], v[150:151], v[34:35]                // 00000000AD48: D3B14022 18024596
	v_mul_f32_dpp v32, v155, v32 row_newbcast:12 row_mask:0xf bank_mask:0xf// 00000000AD50: 0A4040FA FF015C9B
	v_mul_f32_dpp v33, v155, v33 row_newbcast:13 row_mask:0xf bank_mask:0xf// 00000000AD58: 0A4242FA FF015D9B
	v_mul_f32_dpp v34, v155, v34 row_newbcast:14 row_mask:0xf bank_mask:0xf// 00000000AD60: 0A4444FA FF015E9B
	v_mul_f32_dpp v35, v155, v35 row_newbcast:15 row_mask:0xf bank_mask:0xf// 00000000AD68: 0A4646FA FF015F9B
	v_pk_mul_f32 v[36:37], v[152:153], v[36:37]                // 00000000AD70: D3B14024 18024998
	v_pk_mul_f32 v[38:39], v[152:153], v[38:39]                // 00000000AD78: D3B14026 18024D98
	v_mul_f32_dpp v36, v155, v36 row_newbcast:0 row_mask:0xf bank_mask:0xf// 00000000AD80: 0A4848FA FF01509B
	v_mul_f32_dpp v37, v155, v37 row_newbcast:1 row_mask:0xf bank_mask:0xf// 00000000AD88: 0A4A4AFA FF01519B
	v_mul_f32_dpp v38, v155, v38 row_newbcast:2 row_mask:0xf bank_mask:0xf// 00000000AD90: 0A4C4CFA FF01529B
	v_mul_f32_dpp v39, v155, v39 row_newbcast:3 row_mask:0xf bank_mask:0xf// 00000000AD98: 0A4E4EFA FF01539B
	v_pk_mul_f32 v[40:41], v[152:153], v[40:41]                // 00000000ADA0: D3B14028 18025198
	v_pk_mul_f32 v[42:43], v[152:153], v[42:43]                // 00000000ADA8: D3B1402A 18025598
	v_mul_f32_dpp v40, v155, v40 row_newbcast:4 row_mask:0xf bank_mask:0xf// 00000000ADB0: 0A5050FA FF01549B
	v_mul_f32_dpp v41, v155, v41 row_newbcast:5 row_mask:0xf bank_mask:0xf// 00000000ADB8: 0A5252FA FF01559B
	v_mul_f32_dpp v42, v155, v42 row_newbcast:6 row_mask:0xf bank_mask:0xf// 00000000ADC0: 0A5454FA FF01569B
	v_mul_f32_dpp v43, v155, v43 row_newbcast:7 row_mask:0xf bank_mask:0xf// 00000000ADC8: 0A5656FA FF01579B
	v_pk_mul_f32 v[44:45], v[152:153], v[44:45]                // 00000000ADD0: D3B1402C 18025998
	v_pk_mul_f32 v[46:47], v[152:153], v[46:47]                // 00000000ADD8: D3B1402E 18025D98
	v_mul_f32_dpp v44, v155, v44 row_newbcast:8 row_mask:0xf bank_mask:0xf// 00000000ADE0: 0A5858FA FF01589B
	v_mul_f32_dpp v45, v155, v45 row_newbcast:9 row_mask:0xf bank_mask:0xf// 00000000ADE8: 0A5A5AFA FF01599B
	v_mul_f32_dpp v46, v155, v46 row_newbcast:10 row_mask:0xf bank_mask:0xf// 00000000ADF0: 0A5C5CFA FF015A9B
	v_mul_f32_dpp v47, v155, v47 row_newbcast:11 row_mask:0xf bank_mask:0xf// 00000000ADF8: 0A5E5EFA FF015B9B
	v_pk_mul_f32 v[48:49], v[152:153], v[48:49]                // 00000000AE00: D3B14030 18026198
	v_pk_mul_f32 v[50:51], v[152:153], v[50:51]                // 00000000AE08: D3B14032 18026598
	v_mul_f32_dpp v48, v155, v48 row_newbcast:12 row_mask:0xf bank_mask:0xf// 00000000AE10: 0A6060FA FF015C9B
	v_mul_f32_dpp v49, v155, v49 row_newbcast:13 row_mask:0xf bank_mask:0xf// 00000000AE18: 0A6262FA FF015D9B
	v_mul_f32_dpp v50, v155, v50 row_newbcast:14 row_mask:0xf bank_mask:0xf// 00000000AE20: 0A6464FA FF015E9B
	v_mul_f32_dpp v51, v155, v51 row_newbcast:15 row_mask:0xf bank_mask:0xf// 00000000AE28: 0A6666FA FF015F9B
	v_mov_b32_e32 v182, v4                                     // 00000000AE30: 7F6C0304
	v_max3_f32 v182, v4, v5, v182                              // 00000000AE34: D1D300B6 06DA0B04
	v_max3_f32 v182, v6, v7, v182                              // 00000000AE3C: D1D300B6 06DA0F06
	v_max3_f32 v182, v8, v9, v182                              // 00000000AE44: D1D300B6 06DA1308
	v_max3_f32 v182, v10, v11, v182                            // 00000000AE4C: D1D300B6 06DA170A
	v_max3_f32 v182, v12, v13, v182                            // 00000000AE54: D1D300B6 06DA1B0C
	v_max3_f32 v182, v14, v15, v182                            // 00000000AE5C: D1D300B6 06DA1F0E
	v_max3_f32 v182, v16, v17, v182                            // 00000000AE64: D1D300B6 06DA2310
	v_max3_f32 v182, v18, v19, v182                            // 00000000AE6C: D1D300B6 06DA2712
	v_mov_b32_e32 v183, v20                                    // 00000000AE74: 7F6E0314
	v_max3_f32 v183, v20, v21, v183                            // 00000000AE78: D1D300B7 06DE2B14
	v_max3_f32 v183, v22, v23, v183                            // 00000000AE80: D1D300B7 06DE2F16
	v_max3_f32 v183, v24, v25, v183                            // 00000000AE88: D1D300B7 06DE3318
	v_max3_f32 v183, v26, v27, v183                            // 00000000AE90: D1D300B7 06DE371A
	v_max3_f32 v183, v28, v29, v183                            // 00000000AE98: D1D300B7 06DE3B1C
	v_max3_f32 v183, v30, v31, v183                            // 00000000AEA0: D1D300B7 06DE3F1E
	v_max3_f32 v183, v32, v33, v183                            // 00000000AEA8: D1D300B7 06DE4320
	v_max3_f32 v183, v34, v35, v183                            // 00000000AEB0: D1D300B7 06DE4722
	v_mov_b32_e32 v184, v36                                    // 00000000AEB8: 7F700324
	v_max3_f32 v184, v36, v37, v184                            // 00000000AEBC: D1D300B8 06E24B24
	v_max3_f32 v184, v38, v39, v184                            // 00000000AEC4: D1D300B8 06E24F26
	v_max3_f32 v184, v40, v41, v184                            // 00000000AECC: D1D300B8 06E25328
	v_max3_f32 v184, v42, v43, v184                            // 00000000AED4: D1D300B8 06E2572A
	v_max3_f32 v184, v44, v45, v184                            // 00000000AEDC: D1D300B8 06E25B2C
	v_max3_f32 v184, v46, v47, v184                            // 00000000AEE4: D1D300B8 06E25F2E
	v_max3_f32 v184, v48, v49, v184                            // 00000000AEEC: D1D300B8 06E26330
	v_max3_f32 v184, v50, v51, v184                            // 00000000AEF4: D1D300B8 06E26732
	v_pk_mul_f32 v[124:125], v[170:171], v[124:125]            // 00000000AEFC: D3B1407C 1802F9AA
	v_pk_mul_f32 v[126:127], v[170:171], v[126:127]            // 00000000AF04: D3B1407E 1802FDAA
	v_pk_mul_f32 v[128:129], v[170:171], v[128:129]            // 00000000AF0C: D3B14080 180301AA
	v_pk_mul_f32 v[130:131], v[170:171], v[130:131]            // 00000000AF14: D3B14082 180305AA
	v_pk_mul_f32 v[132:133], v[172:173], v[132:133]            // 00000000AF1C: D3B14084 180309AC
	v_pk_mul_f32 v[134:135], v[172:173], v[134:135]            // 00000000AF24: D3B14086 18030DAC
	v_pk_mul_f32 v[136:137], v[172:173], v[136:137]            // 00000000AF2C: D3B14088 180311AC
	v_pk_mul_f32 v[138:139], v[172:173], v[138:139]            // 00000000AF34: D3B1408A 180315AC
	v_pk_mul_f32 v[140:141], v[174:175], v[140:141]            // 00000000AF3C: D3B1408C 180319AE
	v_pk_mul_f32 v[142:143], v[174:175], v[142:143]            // 00000000AF44: D3B1408E 18031DAE
	v_pk_mul_f32 v[144:145], v[174:175], v[144:145]            // 00000000AF4C: D3B14090 180321AE
	v_pk_mul_f32 v[146:147], v[174:175], v[146:147]            // 00000000AF54: D3B14092 180325AE
	ds_bpermute_b32 v188, v208, v182                           // 00000000AF5C: D87E0000 BC00B6D0
	ds_bpermute_b32 v189, v209, v182                           // 00000000AF64: D87E0000 BD00B6D1
	ds_bpermute_b32 v190, v210, v182                           // 00000000AF6C: D87E0000 BE00B6D2
	ds_bpermute_b32 v191, v208, v183                           // 00000000AF74: D87E0000 BF00B7D0
	ds_bpermute_b32 v192, v209, v183                           // 00000000AF7C: D87E0000 C000B7D1
	ds_bpermute_b32 v193, v210, v183                           // 00000000AF84: D87E0000 C100B7D2
	ds_bpermute_b32 v194, v208, v184                           // 00000000AF8C: D87E0000 C200B8D0
	ds_bpermute_b32 v195, v209, v184                           // 00000000AF94: D87E0000 C300B8D1
	ds_bpermute_b32 v196, v210, v184                           // 00000000AF9C: D87E0000 C400B8D2
	s_waitcnt lgkmcnt(6)                                       // 00000000AFA4: BF8CC67F
	v_max3_f32 v182, v188, v189, v182                          // 00000000AFA8: D1D300B6 06DB7BBC
	v_max_f32_e32 v182, v190, v182                             // 00000000AFB0: 176D6DBE
	s_waitcnt lgkmcnt(3)                                       // 00000000AFB4: BF8CC37F
	v_max3_f32 v183, v191, v192, v183                          // 00000000AFB8: D1D300B7 06DF81BF
	v_max_f32_e32 v183, v193, v183                             // 00000000AFC0: 176F6FC1
	s_waitcnt lgkmcnt(0)                                       // 00000000AFC4: BF8CC07F
	v_max3_f32 v184, v194, v195, v184                          // 00000000AFC8: D1D300B8 06E387C2
	v_max_f32_e32 v184, v196, v184                             // 00000000AFD0: 177171C4
	ds_write_b128 v249, v[182:185]                             // 00000000AFD4: D9BE0000 0000B6F9
	s_waitcnt lgkmcnt(0)                                       // 00000000AFDC: BF8CC07F
	s_barrier                                                  // 00000000AFE0: BF8A0000
	v_pk_mul_f32 v[100:101], v[158:159], v[100:101]            // 00000000AFE4: D3B14064 1802C99E
	v_pk_mul_f32 v[102:103], v[158:159], v[102:103]            // 00000000AFEC: D3B14066 1802CD9E
	v_pk_mul_f32 v[104:105], v[158:159], v[104:105]            // 00000000AFF4: D3B14068 1802D19E
	v_pk_mul_f32 v[106:107], v[158:159], v[106:107]            // 00000000AFFC: D3B1406A 1802D59E
	v_pk_mul_f32 v[108:109], v[160:161], v[108:109]            // 00000000B004: D3B1406C 1802D9A0
	v_pk_mul_f32 v[110:111], v[160:161], v[110:111]            // 00000000B00C: D3B1406E 1802DDA0
	v_pk_mul_f32 v[112:113], v[160:161], v[112:113]            // 00000000B014: D3B14070 1802E1A0
	v_pk_mul_f32 v[114:115], v[160:161], v[114:115]            // 00000000B01C: D3B14072 1802E5A0
	v_pk_mul_f32 v[116:117], v[162:163], v[116:117]            // 00000000B024: D3B14074 1802E9A2
	v_pk_mul_f32 v[118:119], v[162:163], v[118:119]            // 00000000B02C: D3B14076 1802EDA2
	v_pk_mul_f32 v[120:121], v[162:163], v[120:121]            // 00000000B034: D3B14078 1802F1A2
	v_pk_mul_f32 v[122:123], v[162:163], v[122:123]            // 00000000B03C: D3B1407A 1802F5A2
	ds_read_b128 v[188:191], v250                              // 00000000B044: D9FE0000 BC0000FA
	ds_read_b128 v[192:195], v250 offset:256                   // 00000000B04C: D9FE0100 C00000FA
	ds_read_b128 v[196:199], v250 offset:512                   // 00000000B054: D9FE0200 C40000FA
	ds_read_b128 v[200:203], v250 offset:768                   // 00000000B05C: D9FE0300 C80000FA
	s_waitcnt lgkmcnt(0)                                       // 00000000B064: BF8CC07F
	v_max3_f32 v182, v188, v192, v182                          // 00000000B068: D1D300B6 06DB81BC
	v_max3_f32 v183, v189, v193, v183                          // 00000000B070: D1D300B7 06DF83BD
	v_max3_f32 v184, v190, v194, v184                          // 00000000B078: D1D300B8 06E385BE
	v_max3_f32 v182, v196, v200, v182                          // 00000000B080: D1D300B6 06DB91C4
	v_max3_f32 v183, v197, v201, v183                          // 00000000B088: D1D300B7 06DF93C5
	v_max3_f32 v184, v198, v202, v184                          // 00000000B090: D1D300B8 06E395C6
	v_max_f32_e32 v167, v182, v164                             // 00000000B098: 174F49B6
	v_mul_f32_e64 v204, -s46, v167                             // 00000000B09C: D10500CC 20034E2E
	v_mov_b32_e32 v205, v204                                   // 00000000B0A4: 7F9A03CC
	v_pk_fma_f32 v[4:5], v[4:5], s[46:47], v[204:205]          // 00000000B0A8: D3B04004 1F305D04
	v_pk_fma_f32 v[6:7], v[6:7], s[46:47], v[204:205]          // 00000000B0B0: D3B04006 1F305D06
	v_exp_f32_e32 v4, v4                                       // 00000000B0B8: 7E084104
	v_exp_f32_e32 v5, v5                                       // 00000000B0BC: 7E0A4105
	v_exp_f32_e32 v6, v6                                       // 00000000B0C0: 7E0C4106
	v_exp_f32_e32 v7, v7                                       // 00000000B0C4: 7E0E4107
	v_pk_fma_f32 v[8:9], v[8:9], s[46:47], v[204:205]          // 00000000B0C8: D3B04008 1F305D08
	v_pk_fma_f32 v[10:11], v[10:11], s[46:47], v[204:205]      // 00000000B0D0: D3B0400A 1F305D0A
	v_exp_f32_e32 v8, v8                                       // 00000000B0D8: 7E104108
	v_exp_f32_e32 v9, v9                                       // 00000000B0DC: 7E124109
	v_exp_f32_e32 v10, v10                                     // 00000000B0E0: 7E14410A
	v_exp_f32_e32 v11, v11                                     // 00000000B0E4: 7E16410B
	v_pk_fma_f32 v[12:13], v[12:13], s[46:47], v[204:205]      // 00000000B0E8: D3B0400C 1F305D0C
	v_pk_fma_f32 v[14:15], v[14:15], s[46:47], v[204:205]      // 00000000B0F0: D3B0400E 1F305D0E
	v_exp_f32_e32 v12, v12                                     // 00000000B0F8: 7E18410C
	v_exp_f32_e32 v13, v13                                     // 00000000B0FC: 7E1A410D
	v_exp_f32_e32 v14, v14                                     // 00000000B100: 7E1C410E
	v_exp_f32_e32 v15, v15                                     // 00000000B104: 7E1E410F
	v_pk_fma_f32 v[16:17], v[16:17], s[46:47], v[204:205]      // 00000000B108: D3B04010 1F305D10
	v_pk_fma_f32 v[18:19], v[18:19], s[46:47], v[204:205]      // 00000000B110: D3B04012 1F305D12
	v_exp_f32_e32 v16, v16                                     // 00000000B118: 7E204110
	v_exp_f32_e32 v17, v17                                     // 00000000B11C: 7E224111
	v_exp_f32_e32 v18, v18                                     // 00000000B120: 7E244112
	v_exp_f32_e32 v19, v19                                     // 00000000B124: 7E264113
	v_max_f32_e32 v168, v183, v165                             // 00000000B128: 17514BB7
	v_mul_f32_e64 v204, -s46, v168                             // 00000000B12C: D10500CC 2003502E
	v_mov_b32_e32 v205, v204                                   // 00000000B134: 7F9A03CC
	v_pk_fma_f32 v[20:21], v[20:21], s[46:47], v[204:205]      // 00000000B138: D3B04014 1F305D14
	v_pk_fma_f32 v[22:23], v[22:23], s[46:47], v[204:205]      // 00000000B140: D3B04016 1F305D16
	v_exp_f32_e32 v20, v20                                     // 00000000B148: 7E284114
	v_exp_f32_e32 v21, v21                                     // 00000000B14C: 7E2A4115
	v_exp_f32_e32 v22, v22                                     // 00000000B150: 7E2C4116
	v_exp_f32_e32 v23, v23                                     // 00000000B154: 7E2E4117
	v_pk_fma_f32 v[24:25], v[24:25], s[46:47], v[204:205]      // 00000000B158: D3B04018 1F305D18
	v_pk_fma_f32 v[26:27], v[26:27], s[46:47], v[204:205]      // 00000000B160: D3B0401A 1F305D1A
	v_exp_f32_e32 v24, v24                                     // 00000000B168: 7E304118
	v_exp_f32_e32 v25, v25                                     // 00000000B16C: 7E324119
	v_exp_f32_e32 v26, v26                                     // 00000000B170: 7E34411A
	v_exp_f32_e32 v27, v27                                     // 00000000B174: 7E36411B
	v_pk_fma_f32 v[28:29], v[28:29], s[46:47], v[204:205]      // 00000000B178: D3B0401C 1F305D1C
	v_pk_fma_f32 v[30:31], v[30:31], s[46:47], v[204:205]      // 00000000B180: D3B0401E 1F305D1E
	v_exp_f32_e32 v28, v28                                     // 00000000B188: 7E38411C
	v_exp_f32_e32 v29, v29                                     // 00000000B18C: 7E3A411D
	v_exp_f32_e32 v30, v30                                     // 00000000B190: 7E3C411E
	v_exp_f32_e32 v31, v31                                     // 00000000B194: 7E3E411F
	v_pk_fma_f32 v[32:33], v[32:33], s[46:47], v[204:205]      // 00000000B198: D3B04020 1F305D20
	v_pk_fma_f32 v[34:35], v[34:35], s[46:47], v[204:205]      // 00000000B1A0: D3B04022 1F305D22
	v_exp_f32_e32 v32, v32                                     // 00000000B1A8: 7E404120
	v_exp_f32_e32 v33, v33                                     // 00000000B1AC: 7E424121
	v_exp_f32_e32 v34, v34                                     // 00000000B1B0: 7E444122
	v_exp_f32_e32 v35, v35                                     // 00000000B1B4: 7E464123
	v_max_f32_e32 v169, v184, v166                             // 00000000B1B8: 17534DB8
	v_mul_f32_e64 v204, -s46, v169                             // 00000000B1BC: D10500CC 2003522E
	v_mov_b32_e32 v205, v204                                   // 00000000B1C4: 7F9A03CC
	v_pk_fma_f32 v[36:37], v[36:37], s[46:47], v[204:205]      // 00000000B1C8: D3B04024 1F305D24
	v_pk_fma_f32 v[38:39], v[38:39], s[46:47], v[204:205]      // 00000000B1D0: D3B04026 1F305D26
	v_exp_f32_e32 v36, v36                                     // 00000000B1D8: 7E484124
	v_exp_f32_e32 v37, v37                                     // 00000000B1DC: 7E4A4125
	v_exp_f32_e32 v38, v38                                     // 00000000B1E0: 7E4C4126
	v_exp_f32_e32 v39, v39                                     // 00000000B1E4: 7E4E4127
	v_pk_fma_f32 v[40:41], v[40:41], s[46:47], v[204:205]      // 00000000B1E8: D3B04028 1F305D28
	v_pk_fma_f32 v[42:43], v[42:43], s[46:47], v[204:205]      // 00000000B1F0: D3B0402A 1F305D2A
	v_exp_f32_e32 v40, v40                                     // 00000000B1F8: 7E504128
	v_exp_f32_e32 v41, v41                                     // 00000000B1FC: 7E524129
	v_exp_f32_e32 v42, v42                                     // 00000000B200: 7E54412A
	v_exp_f32_e32 v43, v43                                     // 00000000B204: 7E56412B
	v_pk_fma_f32 v[44:45], v[44:45], s[46:47], v[204:205]      // 00000000B208: D3B0402C 1F305D2C
	v_pk_fma_f32 v[46:47], v[46:47], s[46:47], v[204:205]      // 00000000B210: D3B0402E 1F305D2E
	v_exp_f32_e32 v44, v44                                     // 00000000B218: 7E58412C
	v_exp_f32_e32 v45, v45                                     // 00000000B21C: 7E5A412D
	v_exp_f32_e32 v46, v46                                     // 00000000B220: 7E5C412E
	v_exp_f32_e32 v47, v47                                     // 00000000B224: 7E5E412F
	v_pk_fma_f32 v[48:49], v[48:49], s[46:47], v[204:205]      // 00000000B228: D3B04030 1F305D30
	v_pk_fma_f32 v[50:51], v[50:51], s[46:47], v[204:205]      // 00000000B230: D3B04032 1F305D32
	v_exp_f32_e32 v48, v48                                     // 00000000B238: 7E604130
	v_exp_f32_e32 v49, v49                                     // 00000000B23C: 7E624131
	v_exp_f32_e32 v50, v50                                     // 00000000B240: 7E644132
	v_exp_f32_e32 v51, v51                                     // 00000000B244: 7E664133
	v_mul_f32_dpp v52, v157, v4 row_newbcast:0 row_mask:0xf bank_mask:0xf// 00000000B248: 0A6808FA FF01509D
	v_mul_f32_dpp v53, v157, v5 row_newbcast:1 row_mask:0xf bank_mask:0xf// 00000000B250: 0A6A0AFA FF01519D
	v_mul_f32_dpp v54, v157, v6 row_newbcast:2 row_mask:0xf bank_mask:0xf// 00000000B258: 0A6C0CFA FF01529D
	v_mul_f32_dpp v55, v157, v7 row_newbcast:3 row_mask:0xf bank_mask:0xf// 00000000B260: 0A6E0EFA FF01539D
	v_mul_f32_dpp v56, v157, v8 row_newbcast:4 row_mask:0xf bank_mask:0xf// 00000000B268: 0A7010FA FF01549D
	v_mul_f32_dpp v57, v157, v9 row_newbcast:5 row_mask:0xf bank_mask:0xf// 00000000B270: 0A7212FA FF01559D
	v_mul_f32_dpp v58, v157, v10 row_newbcast:6 row_mask:0xf bank_mask:0xf// 00000000B278: 0A7414FA FF01569D
	v_mul_f32_dpp v59, v157, v11 row_newbcast:7 row_mask:0xf bank_mask:0xf// 00000000B280: 0A7616FA FF01579D
	v_mul_f32_dpp v60, v157, v12 row_newbcast:8 row_mask:0xf bank_mask:0xf// 00000000B288: 0A7818FA FF01589D
	v_mul_f32_dpp v61, v157, v13 row_newbcast:9 row_mask:0xf bank_mask:0xf// 00000000B290: 0A7A1AFA FF01599D
	v_mul_f32_dpp v62, v157, v14 row_newbcast:10 row_mask:0xf bank_mask:0xf// 00000000B298: 0A7C1CFA FF015A9D
	v_mul_f32_dpp v63, v157, v15 row_newbcast:11 row_mask:0xf bank_mask:0xf// 00000000B2A0: 0A7E1EFA FF015B9D
	v_mul_f32_dpp v64, v157, v16 row_newbcast:12 row_mask:0xf bank_mask:0xf// 00000000B2A8: 0A8020FA FF015C9D
	v_mul_f32_dpp v65, v157, v17 row_newbcast:13 row_mask:0xf bank_mask:0xf// 00000000B2B0: 0A8222FA FF015D9D
	v_mul_f32_dpp v66, v157, v18 row_newbcast:14 row_mask:0xf bank_mask:0xf// 00000000B2B8: 0A8424FA FF015E9D
	v_mul_f32_dpp v67, v157, v19 row_newbcast:15 row_mask:0xf bank_mask:0xf// 00000000B2C0: 0A8626FA FF015F9D
	v_mul_f32_dpp v68, v157, v20 row_newbcast:0 row_mask:0xf bank_mask:0xf// 00000000B2C8: 0A8828FA FF01509D
	v_mul_f32_dpp v69, v157, v21 row_newbcast:1 row_mask:0xf bank_mask:0xf// 00000000B2D0: 0A8A2AFA FF01519D
	v_mul_f32_dpp v70, v157, v22 row_newbcast:2 row_mask:0xf bank_mask:0xf// 00000000B2D8: 0A8C2CFA FF01529D
	v_mul_f32_dpp v71, v157, v23 row_newbcast:3 row_mask:0xf bank_mask:0xf// 00000000B2E0: 0A8E2EFA FF01539D
	v_mul_f32_dpp v72, v157, v24 row_newbcast:4 row_mask:0xf bank_mask:0xf// 00000000B2E8: 0A9030FA FF01549D
	v_mul_f32_dpp v73, v157, v25 row_newbcast:5 row_mask:0xf bank_mask:0xf// 00000000B2F0: 0A9232FA FF01559D
	v_mul_f32_dpp v74, v157, v26 row_newbcast:6 row_mask:0xf bank_mask:0xf// 00000000B2F8: 0A9434FA FF01569D
	v_mul_f32_dpp v75, v157, v27 row_newbcast:7 row_mask:0xf bank_mask:0xf// 00000000B300: 0A9636FA FF01579D
	v_mul_f32_dpp v76, v157, v28 row_newbcast:8 row_mask:0xf bank_mask:0xf// 00000000B308: 0A9838FA FF01589D
	v_mul_f32_dpp v77, v157, v29 row_newbcast:9 row_mask:0xf bank_mask:0xf// 00000000B310: 0A9A3AFA FF01599D
	v_mul_f32_dpp v78, v157, v30 row_newbcast:10 row_mask:0xf bank_mask:0xf// 00000000B318: 0A9C3CFA FF015A9D
	v_mul_f32_dpp v79, v157, v31 row_newbcast:11 row_mask:0xf bank_mask:0xf// 00000000B320: 0A9E3EFA FF015B9D
	v_mul_f32_dpp v80, v157, v32 row_newbcast:12 row_mask:0xf bank_mask:0xf// 00000000B328: 0AA040FA FF015C9D
	v_mul_f32_dpp v81, v157, v33 row_newbcast:13 row_mask:0xf bank_mask:0xf// 00000000B330: 0AA242FA FF015D9D
	v_mul_f32_dpp v82, v157, v34 row_newbcast:14 row_mask:0xf bank_mask:0xf// 00000000B338: 0AA444FA FF015E9D
	v_mul_f32_dpp v83, v157, v35 row_newbcast:15 row_mask:0xf bank_mask:0xf// 00000000B340: 0AA646FA FF015F9D
	v_mul_f32_dpp v84, v157, v36 row_newbcast:0 row_mask:0xf bank_mask:0xf// 00000000B348: 0AA848FA FF01509D
	v_mul_f32_dpp v85, v157, v37 row_newbcast:1 row_mask:0xf bank_mask:0xf// 00000000B350: 0AAA4AFA FF01519D
	v_mul_f32_dpp v86, v157, v38 row_newbcast:2 row_mask:0xf bank_mask:0xf// 00000000B358: 0AAC4CFA FF01529D
	v_mul_f32_dpp v87, v157, v39 row_newbcast:3 row_mask:0xf bank_mask:0xf// 00000000B360: 0AAE4EFA FF01539D
	v_mul_f32_dpp v88, v157, v40 row_newbcast:4 row_mask:0xf bank_mask:0xf// 00000000B368: 0AB050FA FF01549D
	v_mul_f32_dpp v89, v157, v41 row_newbcast:5 row_mask:0xf bank_mask:0xf// 00000000B370: 0AB252FA FF01559D
	v_mul_f32_dpp v90, v157, v42 row_newbcast:6 row_mask:0xf bank_mask:0xf// 00000000B378: 0AB454FA FF01569D
	v_mul_f32_dpp v91, v157, v43 row_newbcast:7 row_mask:0xf bank_mask:0xf// 00000000B380: 0AB656FA FF01579D
	v_mul_f32_dpp v92, v157, v44 row_newbcast:8 row_mask:0xf bank_mask:0xf// 00000000B388: 0AB858FA FF01589D
	v_mul_f32_dpp v93, v157, v45 row_newbcast:9 row_mask:0xf bank_mask:0xf// 00000000B390: 0ABA5AFA FF01599D
	v_mul_f32_dpp v94, v157, v46 row_newbcast:10 row_mask:0xf bank_mask:0xf// 00000000B398: 0ABC5CFA FF015A9D
	v_mul_f32_dpp v95, v157, v47 row_newbcast:11 row_mask:0xf bank_mask:0xf// 00000000B3A0: 0ABE5EFA FF015B9D
	v_mul_f32_dpp v96, v157, v48 row_newbcast:12 row_mask:0xf bank_mask:0xf// 00000000B3A8: 0AC060FA FF015C9D
	v_mul_f32_dpp v97, v157, v49 row_newbcast:13 row_mask:0xf bank_mask:0xf// 00000000B3B0: 0AC262FA FF015D9D
	v_mul_f32_dpp v98, v157, v50 row_newbcast:14 row_mask:0xf bank_mask:0xf// 00000000B3B8: 0AC464FA FF015E9D
	v_mul_f32_dpp v99, v157, v51 row_newbcast:15 row_mask:0xf bank_mask:0xf// 00000000B3C0: 0AC666FA FF015F9D
	buffer_load_dword v154, v235, s[20:23], 0 offen            // 00000000B3C8: E0501000 80059AEB
	v_sub_f32_e32 v170, v164, v167                             // 00000000B3D0: 05554FA4
	v_cmp_eq_u32_e64 s[98:99], v222, v164                      // 00000000B3D4: D0CA0062 000349DE
	v_cndmask_b32_e64 v170, v170, 0, s[98:99]                  // 00000000B3DC: D10000AA 018901AA
	v_mov_b32_e32 v164, v167                                   // 00000000B3E4: 7F4803A7
	v_mul_f32_e32 v170, s46, v170                              // 00000000B3E8: 0B55542E
	v_exp_f32_e32 v170, v170                                   // 00000000B3EC: 7F5441AA
	v_sub_f32_e32 v172, v165, v168                             // 00000000B3F0: 055951A5
	v_cmp_eq_u32_e64 s[98:99], v222, v165                      // 00000000B3F4: D0CA0062 00034BDE
	v_cndmask_b32_e64 v172, v172, 0, s[98:99]                  // 00000000B3FC: D10000AC 018901AC
	v_mov_b32_e32 v165, v168                                   // 00000000B404: 7F4A03A8
	v_mul_f32_e32 v172, s46, v172                              // 00000000B408: 0B59582E
	v_exp_f32_e32 v172, v172                                   // 00000000B40C: 7F5841AC
	v_sub_f32_e32 v174, v166, v169                             // 00000000B410: 055D53A6
	v_cmp_eq_u32_e64 s[98:99], v222, v166                      // 00000000B414: D0CA0062 00034DDE
	v_cndmask_b32_e64 v174, v174, 0, s[98:99]                  // 00000000B41C: D10000AE 018901AE
	v_mov_b32_e32 v166, v169                                   // 00000000B424: 7F4C03A9
	v_mul_f32_e32 v174, s46, v174                              // 00000000B428: 0B5D5C2E
	v_exp_f32_e32 v174, v174                                   // 00000000B42C: 7F5C41AE
	v_mov_b32_e32 v171, v170                                   // 00000000B430: 7F5603AA
	v_mov_b32_e32 v173, v172                                   // 00000000B434: 7F5A03AC
	v_mov_b32_e32 v175, v174                                   // 00000000B438: 7F5E03AE
	s_waitcnt lgkmcnt(0)                                       // 00000000B43C: BF8CC07F
	s_barrier                                                  // 00000000B440: BF8A0000
	buffer_load_dword v156, v236, s[24:27], 0 offen            // 00000000B444: E0501000 80069CEC
	v_mul_f32_e32 v176, v170, v176                             // 00000000B44C: 0B6161AA
	v_mov_b32_e32 v177, 0                                      // 00000000B450: 7F620280
	v_pk_add_f32 v[176:177], v[4:5], v[176:177]                // 00000000B454: D3B240B0 18036104
	v_pk_add_f32 v[176:177], v[6:7], v[176:177]                // 00000000B45C: D3B240B0 18036106
	v_pk_add_f32 v[176:177], v[8:9], v[176:177]                // 00000000B464: D3B240B0 18036108
	v_pk_add_f32 v[176:177], v[10:11], v[176:177]              // 00000000B46C: D3B240B0 1803610A
	v_pk_add_f32 v[176:177], v[12:13], v[176:177]              // 00000000B474: D3B240B0 1803610C
	v_pk_add_f32 v[176:177], v[14:15], v[176:177]              // 00000000B47C: D3B240B0 1803610E
	v_pk_add_f32 v[176:177], v[16:17], v[176:177]              // 00000000B484: D3B240B0 18036110
	v_pk_add_f32 v[176:177], v[18:19], v[176:177]              // 00000000B48C: D3B240B0 18036112
	v_add_f32_e32 v176, v177, v176                             // 00000000B494: 036161B1
	v_mul_f32_e32 v178, v172, v178                             // 00000000B498: 0B6565AC
	v_mov_b32_e32 v179, 0                                      // 00000000B49C: 7F660280
	v_pk_add_f32 v[178:179], v[20:21], v[178:179]              // 00000000B4A0: D3B240B2 18036514
	v_pk_add_f32 v[178:179], v[22:23], v[178:179]              // 00000000B4A8: D3B240B2 18036516
	v_pk_add_f32 v[178:179], v[24:25], v[178:179]              // 00000000B4B0: D3B240B2 18036518
	v_pk_add_f32 v[178:179], v[26:27], v[178:179]              // 00000000B4B8: D3B240B2 1803651A
	v_pk_add_f32 v[178:179], v[28:29], v[178:179]              // 00000000B4C0: D3B240B2 1803651C
	v_pk_add_f32 v[178:179], v[30:31], v[178:179]              // 00000000B4C8: D3B240B2 1803651E
	v_pk_add_f32 v[178:179], v[32:33], v[178:179]              // 00000000B4D0: D3B240B2 18036520
	v_pk_add_f32 v[178:179], v[34:35], v[178:179]              // 00000000B4D8: D3B240B2 18036522
	v_add_f32_e32 v178, v179, v178                             // 00000000B4E0: 036565B3
	v_mul_f32_e32 v180, v174, v180                             // 00000000B4E4: 0B6969AE
	v_mov_b32_e32 v181, 0                                      // 00000000B4E8: 7F6A0280
	v_pk_add_f32 v[180:181], v[36:37], v[180:181]              // 00000000B4EC: D3B240B4 18036924
	v_pk_add_f32 v[180:181], v[38:39], v[180:181]              // 00000000B4F4: D3B240B4 18036926
	v_pk_add_f32 v[180:181], v[40:41], v[180:181]              // 00000000B4FC: D3B240B4 18036928
	v_pk_add_f32 v[180:181], v[42:43], v[180:181]              // 00000000B504: D3B240B4 1803692A
	v_pk_add_f32 v[180:181], v[44:45], v[180:181]              // 00000000B50C: D3B240B4 1803692C
	v_pk_add_f32 v[180:181], v[46:47], v[180:181]              // 00000000B514: D3B240B4 1803692E
	v_pk_add_f32 v[180:181], v[48:49], v[180:181]              // 00000000B51C: D3B240B4 18036930
	v_pk_add_f32 v[180:181], v[50:51], v[180:181]              // 00000000B524: D3B240B4 18036932
	v_add_f32_e32 v180, v181, v180                             // 00000000B52C: 036969B5
	s_waitcnt lgkmcnt(0)                                       // 00000000B530: BF8CC07F
	v_sub_f32_e32 v182, v182, v164                             // 00000000B534: 056D49B6
	v_sub_f32_e32 v183, v183, v165                             // 00000000B538: 056F4BB7
	v_sub_f32_e32 v184, v184, v166                             // 00000000B53C: 05714DB8
	v_mul_f32_e32 v182, s46, v182                              // 00000000B540: 0B6D6C2E
	v_mul_f32_e32 v183, s46, v183                              // 00000000B544: 0B6F6E2E
	v_mul_f32_e32 v184, s46, v184                              // 00000000B548: 0B71702E
	v_exp_f32_e32 v182, v182                                   // 00000000B54C: 7F6C41B6
	v_exp_f32_e32 v183, v183                                   // 00000000B550: 7F6E41B7
	v_exp_f32_e32 v184, v184                                   // 00000000B554: 7F7041B8
	v_mul_f32_e32 v182, v157, v182                             // 00000000B558: 0B6D6D9D
	v_mul_f32_e32 v183, v157, v183                             // 00000000B55C: 0B6F6F9D
	v_mul_f32_e32 v184, v157, v184                             // 00000000B560: 0B71719D
	v_add_f32_e32 v182, 0x3089705f, v182                       // 00000000B564: 036D6CFF 3089705F
	v_add_f32_e32 v183, 0x3089705f, v183                       // 00000000B56C: 036F6EFF 3089705F
	v_add_f32_e32 v184, 0x3089705f, v184                       // 00000000B574: 037170FF 3089705F
	v_rcp_f32_e32 v182, v182                                   // 00000000B57C: 7F6C45B6
	v_rcp_f32_e32 v183, v183                                   // 00000000B580: 7F6E45B7
	v_rcp_f32_e32 v184, v184                                   // 00000000B584: 7F7045B8
	v_mul_f32_e32 v182, 0x43700000, v182                       // 00000000B588: 0B6D6CFF 43700000
	v_mul_f32_e32 v183, 0x43700000, v183                       // 00000000B590: 0B6F6EFF 43700000
	v_mul_f32_e32 v184, 0x43700000, v184                       // 00000000B598: 0B7170FF 43700000
	v_mov_b32_e32 v186, v184                                   // 00000000B5A0: 7F7403B8
	v_mov_b32_e32 v187, v184                                   // 00000000B5A4: 7F7603B8
	v_mov_b32_e32 v184, v183                                   // 00000000B5A8: 7F7003B7
	v_mov_b32_e32 v185, v183                                   // 00000000B5AC: 7F7203B7
	v_mov_b32_e32 v183, v182                                   // 00000000B5B0: 7F6E03B6
	v_pk_mul_f32 v[4:5], v[182:183], v[52:53]                  // 00000000B5B4: D3B14004 180269B6
	v_pk_mul_f32 v[6:7], v[182:183], v[54:55]                  // 00000000B5BC: D3B14006 18026DB6
	v_pk_mul_f32 v[8:9], v[182:183], v[56:57]                  // 00000000B5C4: D3B14008 180271B6
	v_pk_mul_f32 v[10:11], v[182:183], v[58:59]                // 00000000B5CC: D3B1400A 180275B6
	v_pk_mul_f32 v[12:13], v[182:183], v[60:61]                // 00000000B5D4: D3B1400C 180279B6
	v_pk_mul_f32 v[14:15], v[182:183], v[62:63]                // 00000000B5DC: D3B1400E 18027DB6
	v_pk_mul_f32 v[16:17], v[182:183], v[64:65]                // 00000000B5E4: D3B14010 180281B6
	v_pk_mul_f32 v[18:19], v[182:183], v[66:67]                // 00000000B5EC: D3B14012 180285B6
	v_pk_mul_f32 v[20:21], v[184:185], v[68:69]                // 00000000B5F4: D3B14014 180289B8
	v_pk_mul_f32 v[22:23], v[184:185], v[70:71]                // 00000000B5FC: D3B14016 18028DB8
	v_pk_mul_f32 v[24:25], v[184:185], v[72:73]                // 00000000B604: D3B14018 180291B8
	v_pk_mul_f32 v[26:27], v[184:185], v[74:75]                // 00000000B60C: D3B1401A 180295B8
	v_pk_mul_f32 v[28:29], v[184:185], v[76:77]                // 00000000B614: D3B1401C 180299B8
	v_pk_mul_f32 v[30:31], v[184:185], v[78:79]                // 00000000B61C: D3B1401E 18029DB8
	v_pk_mul_f32 v[32:33], v[184:185], v[80:81]                // 00000000B624: D3B14020 1802A1B8
	v_pk_mul_f32 v[34:35], v[184:185], v[82:83]                // 00000000B62C: D3B14022 1802A5B8
	v_pk_mul_f32 v[36:37], v[186:187], v[84:85]                // 00000000B634: D3B14024 1802A9BA
	v_pk_mul_f32 v[38:39], v[186:187], v[86:87]                // 00000000B63C: D3B14026 1802ADBA
	v_pk_mul_f32 v[40:41], v[186:187], v[88:89]                // 00000000B644: D3B14028 1802B1BA
	v_pk_mul_f32 v[42:43], v[186:187], v[90:91]                // 00000000B64C: D3B1402A 1802B5BA
	v_pk_mul_f32 v[44:45], v[186:187], v[92:93]                // 00000000B654: D3B1402C 1802B9BA
	v_pk_mul_f32 v[46:47], v[186:187], v[94:95]                // 00000000B65C: D3B1402E 1802BDBA
	v_pk_mul_f32 v[48:49], v[186:187], v[96:97]                // 00000000B664: D3B14030 1802C1BA
	v_pk_mul_f32 v[50:51], v[186:187], v[98:99]                // 00000000B66C: D3B14032 1802C5BA
	v_cvt_pk_fp8_f32 v4, v4, v5                                // 00000000B674: D2A20004 00020B04
	v_cvt_pk_fp8_f32 v4, v6, v7 op_sel:[0,0,1]                 // 00000000B67C: D2A24004 00020F06
	v_cvt_pk_fp8_f32 v5, v8, v9                                // 00000000B684: D2A20005 00021308
	v_cvt_pk_fp8_f32 v5, v10, v11 op_sel:[0,0,1]               // 00000000B68C: D2A24005 0002170A
	v_cvt_pk_fp8_f32 v6, v12, v13                              // 00000000B694: D2A20006 00021B0C
	v_cvt_pk_fp8_f32 v6, v14, v15 op_sel:[0,0,1]               // 00000000B69C: D2A24006 00021F0E
	v_cvt_pk_fp8_f32 v7, v16, v17                              // 00000000B6A4: D2A20007 00022310
	v_cvt_pk_fp8_f32 v7, v18, v19 op_sel:[0,0,1]               // 00000000B6AC: D2A24007 00022712
	v_cvt_pk_fp8_f32 v8, v20, v21                              // 00000000B6B4: D2A20008 00022B14
	v_cvt_pk_fp8_f32 v8, v22, v23 op_sel:[0,0,1]               // 00000000B6BC: D2A24008 00022F16
	v_cvt_pk_fp8_f32 v9, v24, v25                              // 00000000B6C4: D2A20009 00023318
	v_cvt_pk_fp8_f32 v9, v26, v27 op_sel:[0,0,1]               // 00000000B6CC: D2A24009 0002371A
	v_cvt_pk_fp8_f32 v10, v28, v29                             // 00000000B6D4: D2A2000A 00023B1C
	v_cvt_pk_fp8_f32 v10, v30, v31 op_sel:[0,0,1]              // 00000000B6DC: D2A2400A 00023F1E
	v_cvt_pk_fp8_f32 v11, v32, v33                             // 00000000B6E4: D2A2000B 00024320
	v_cvt_pk_fp8_f32 v11, v34, v35 op_sel:[0,0,1]              // 00000000B6EC: D2A2400B 00024722
	v_cvt_pk_fp8_f32 v12, v36, v37                             // 00000000B6F4: D2A2000C 00024B24
	v_cvt_pk_fp8_f32 v12, v38, v39 op_sel:[0,0,1]              // 00000000B6FC: D2A2400C 00024F26
	v_cvt_pk_fp8_f32 v13, v40, v41                             // 00000000B704: D2A2000D 00025328
	v_cvt_pk_fp8_f32 v13, v42, v43 op_sel:[0,0,1]              // 00000000B70C: D2A2400D 0002572A
	v_cvt_pk_fp8_f32 v14, v44, v45                             // 00000000B714: D2A2000E 00025B2C
	v_cvt_pk_fp8_f32 v14, v46, v47 op_sel:[0,0,1]              // 00000000B71C: D2A2400E 00025F2E
	v_cvt_pk_fp8_f32 v15, v48, v49                             // 00000000B724: D2A2000F 00026330
	v_cvt_pk_fp8_f32 v15, v50, v51 op_sel:[0,0,1]              // 00000000B72C: D2A2400F 00026732
	ds_write_b32 v251, v4 offset:8192                          // 00000000B734: D81A2000 000004FB
	ds_write_b32 v251, v5 offset:9216                          // 00000000B73C: D81A2400 000005FB
	ds_write_b32 v251, v6 offset:10240                         // 00000000B744: D81A2800 000006FB
	ds_write_b32 v251, v7 offset:11264                         // 00000000B74C: D81A2C00 000007FB
	ds_write_b32 v251, v8 offset:12288                         // 00000000B754: D81A3000 000008FB
	ds_write_b32 v251, v9 offset:13312                         // 00000000B75C: D81A3400 000009FB
	ds_write_b32 v251, v10 offset:14336                        // 00000000B764: D81A3800 00000AFB
	ds_write_b32 v251, v11 offset:15360                        // 00000000B76C: D81A3C00 00000BFB
	ds_write_b32 v251, v12 offset:16384                        // 00000000B774: D81A4000 00000CFB
	ds_write_b32 v251, v13 offset:17408                        // 00000000B77C: D81A4400 00000DFB
	ds_write_b32 v251, v14 offset:18432                        // 00000000B784: D81A4800 00000EFB
	ds_write_b32 v251, v15 offset:19456                        // 00000000B78C: D81A4C00 00000FFB
	v_rcp_f32_e32 v158, v182                                   // 00000000B794: 7F3C45B6
	v_rcp_f32_e32 v160, v184                                   // 00000000B798: 7F4045B8
	v_rcp_f32_e32 v162, v186                                   // 00000000B79C: 7F4445BA
	v_mov_b32_e32 v159, v158                                   // 00000000B7A0: 7F3E039E
	v_mov_b32_e32 v161, v160                                   // 00000000B7A4: 7F4203A0
	v_mov_b32_e32 v163, v162                                   // 00000000B7A8: 7F4603A2
	v_pk_add_f32 v[124:125], v[124:125], v[100:101]            // 00000000B7AC: D3B2407C 1802C97C
	v_pk_add_f32 v[126:127], v[126:127], v[102:103]            // 00000000B7B4: D3B2407E 1802CD7E
	v_pk_add_f32 v[128:129], v[128:129], v[104:105]            // 00000000B7BC: D3B24080 1802D180
	v_pk_add_f32 v[130:131], v[130:131], v[106:107]            // 00000000B7C4: D3B24082 1802D582
	v_pk_add_f32 v[132:133], v[132:133], v[108:109]            // 00000000B7CC: D3B24084 1802D984
	v_pk_add_f32 v[134:135], v[134:135], v[110:111]            // 00000000B7D4: D3B24086 1802DD86
	v_pk_add_f32 v[136:137], v[136:137], v[112:113]            // 00000000B7DC: D3B24088 1802E188
	v_pk_add_f32 v[138:139], v[138:139], v[114:115]            // 00000000B7E4: D3B2408A 1802E58A
	v_pk_add_f32 v[140:141], v[140:141], v[116:117]            // 00000000B7EC: D3B2408C 1802E98C
	v_pk_add_f32 v[142:143], v[142:143], v[118:119]            // 00000000B7F4: D3B2408E 1802ED8E
	v_pk_add_f32 v[144:145], v[144:145], v[120:121]            // 00000000B7FC: D3B24090 1802F190
	v_pk_add_f32 v[146:147], v[146:147], v[122:123]            // 00000000B804: D3B24092 1802F592
	s_waitcnt lgkmcnt(0)                                       // 00000000B80C: BF8CC07F
	s_barrier                                                  // 00000000B810: BF8A0000
	ds_read_b128 v[4:7], v252 offset:8192                      // 00000000B814: D9FE2000 040000FC
	ds_read_b128 v[8:11], v252 offset:9216                     // 00000000B81C: D9FE2400 080000FC
	ds_read_b128 v[12:15], v252 offset:10240                   // 00000000B824: D9FE2800 0C0000FC
	ds_read_b128 v[16:19], v252 offset:11264                   // 00000000B82C: D9FE2C00 100000FC
	ds_read_b128 v[20:23], v252 offset:12288                   // 00000000B834: D9FE3000 140000FC
	ds_read_b128 v[24:27], v252 offset:13312                   // 00000000B83C: D9FE3400 180000FC
	ds_read_b128 v[28:31], v252 offset:14336                   // 00000000B844: D9FE3800 1C0000FC
	ds_read_b128 v[32:35], v252 offset:15360                   // 00000000B84C: D9FE3C00 200000FC
	ds_read_b128 v[36:39], v252 offset:16384                   // 00000000B854: D9FE4000 240000FC
	ds_read_b128 v[40:43], v252 offset:17408                   // 00000000B85C: D9FE4400 280000FC
	ds_read_b128 v[44:47], v252 offset:18432                   // 00000000B864: D9FE4800 2C0000FC
	ds_read_b128 v[48:51], v252 offset:19456                   // 00000000B86C: D9FE4C00 300000FC
	s_waitcnt vmcnt(10)                                        // 00000000B874: BF8C0F7A
	s_waitcnt lgkmcnt(11)                                      // 00000000B878: BF8CCB7F
	v_mfma_f32_16x16x32_fp8_fp8 v[100:103], a[120:121], v[4:5], 0// 00000000B87C: D3F30064 0A020978
	v_mfma_f32_16x16x32_fp8_fp8 v[104:107], a[136:137], v[4:5], 0// 00000000B884: D3F30068 0A020988
	v_mfma_f32_16x16x32_fp8_fp8 v[100:103], a[122:123], v[6:7], v[100:103]// 00000000B88C: D3F30064 0D920D7A
	buffer_load_dwordx4 a[88:91], v231, s[16:19], 0 offen      // 00000000B894: E05C1000 808458E7
	v_mfma_f32_16x16x32_fp8_fp8 v[104:107], a[138:139], v[6:7], v[104:107]// 00000000B89C: D3F30068 0DA20D8A
	s_waitcnt lgkmcnt(10)                                      // 00000000B8A4: BF8CCA7F
	v_mfma_f32_16x16x32_fp8_fp8 v[100:103], a[124:125], v[8:9], v[100:103]// 00000000B8A8: D3F30064 0D92117C
	v_mfma_f32_16x16x32_fp8_fp8 v[104:107], a[140:141], v[8:9], v[104:107]// 00000000B8B0: D3F30068 0DA2118C
	v_mfma_f32_16x16x32_fp8_fp8 v[100:103], a[126:127], v[10:11], v[100:103]// 00000000B8B8: D3F30064 0D92157E
	buffer_load_dwordx4 a[92:95], v232, s[16:19], 0 offen      // 00000000B8C0: E05C1000 80845CE8
	v_mfma_f32_16x16x32_fp8_fp8 v[104:107], a[142:143], v[10:11], v[104:107]// 00000000B8C8: D3F30068 0DA2158E
	s_waitcnt lgkmcnt(9)                                       // 00000000B8D0: BF8CC97F
	v_mfma_f32_16x16x32_fp8_fp8 v[100:103], a[128:129], v[12:13], v[100:103]// 00000000B8D4: D3F30064 0D921980
	v_mfma_f32_16x16x32_fp8_fp8 v[104:107], a[144:145], v[12:13], v[104:107]// 00000000B8DC: D3F30068 0DA21990
	v_mfma_f32_16x16x32_fp8_fp8 v[100:103], a[130:131], v[14:15], v[100:103]// 00000000B8E4: D3F30064 0D921D82
	buffer_load_dwordx4 a[96:99], v233, s[16:19], 0 offen      // 00000000B8EC: E05C1000 808460E9
	v_mfma_f32_16x16x32_fp8_fp8 v[104:107], a[146:147], v[14:15], v[104:107]// 00000000B8F4: D3F30068 0DA21D92
	s_waitcnt lgkmcnt(8)                                       // 00000000B8FC: BF8CC87F
	v_mfma_f32_16x16x32_fp8_fp8 v[100:103], a[132:133], v[16:17], v[100:103]// 00000000B900: D3F30064 0D922184
	v_mfma_f32_16x16x32_fp8_fp8 v[104:107], a[148:149], v[16:17], v[104:107]// 00000000B908: D3F30068 0DA22194
	v_mfma_f32_16x16x32_fp8_fp8 v[100:103], a[134:135], v[18:19], v[100:103]// 00000000B910: D3F30064 0D922586
	buffer_load_dwordx4 a[100:103], v234, s[16:19], 0 offen    // 00000000B918: E05C1000 808464EA
	v_mfma_f32_16x16x32_fp8_fp8 v[104:107], a[150:151], v[18:19], v[104:107]// 00000000B920: D3F30068 0DA22596
	s_waitcnt lgkmcnt(7)                                       // 00000000B928: BF8CC77F
	v_mfma_f32_16x16x32_fp8_fp8 v[108:111], a[120:121], v[20:21], 0// 00000000B92C: D3F3006C 0A022978
	v_mfma_f32_16x16x32_fp8_fp8 v[112:115], a[136:137], v[20:21], 0// 00000000B934: D3F30070 0A022988
	v_mfma_f32_16x16x32_fp8_fp8 v[108:111], a[122:123], v[22:23], v[108:111]// 00000000B93C: D3F3006C 0DB22D7A
	buffer_load_dwordx4 a[104:107], v231, s[16:19], 0 offen offset:1024// 00000000B944: E05C1400 808468E7
	v_mfma_f32_16x16x32_fp8_fp8 v[112:115], a[138:139], v[22:23], v[112:115]// 00000000B94C: D3F30070 0DC22D8A
	s_waitcnt lgkmcnt(6)                                       // 00000000B954: BF8CC67F
	v_mfma_f32_16x16x32_fp8_fp8 v[108:111], a[124:125], v[24:25], v[108:111]// 00000000B958: D3F3006C 0DB2317C
	v_mfma_f32_16x16x32_fp8_fp8 v[112:115], a[140:141], v[24:25], v[112:115]// 00000000B960: D3F30070 0DC2318C
	v_mfma_f32_16x16x32_fp8_fp8 v[108:111], a[126:127], v[26:27], v[108:111]// 00000000B968: D3F3006C 0DB2357E
	buffer_load_dwordx4 a[108:111], v232, s[16:19], 0 offen offset:1024// 00000000B970: E05C1400 80846CE8
	v_mfma_f32_16x16x32_fp8_fp8 v[112:115], a[142:143], v[26:27], v[112:115]// 00000000B978: D3F30070 0DC2358E
	s_waitcnt lgkmcnt(5)                                       // 00000000B980: BF8CC57F
	v_mfma_f32_16x16x32_fp8_fp8 v[108:111], a[128:129], v[28:29], v[108:111]// 00000000B984: D3F3006C 0DB23980
	v_mfma_f32_16x16x32_fp8_fp8 v[112:115], a[144:145], v[28:29], v[112:115]// 00000000B98C: D3F30070 0DC23990
	v_mfma_f32_16x16x32_fp8_fp8 v[108:111], a[130:131], v[30:31], v[108:111]// 00000000B994: D3F3006C 0DB23D82
	buffer_load_dwordx4 a[112:115], v233, s[16:19], 0 offen offset:1024// 00000000B99C: E05C1400 808470E9
	v_mfma_f32_16x16x32_fp8_fp8 v[112:115], a[146:147], v[30:31], v[112:115]// 00000000B9A4: D3F30070 0DC23D92
	s_waitcnt lgkmcnt(4)                                       // 00000000B9AC: BF8CC47F
	v_mfma_f32_16x16x32_fp8_fp8 v[108:111], a[132:133], v[32:33], v[108:111]// 00000000B9B0: D3F3006C 0DB24184
	v_mfma_f32_16x16x32_fp8_fp8 v[112:115], a[148:149], v[32:33], v[112:115]// 00000000B9B8: D3F30070 0DC24194
	v_mfma_f32_16x16x32_fp8_fp8 v[108:111], a[134:135], v[34:35], v[108:111]// 00000000B9C0: D3F3006C 0DB24586
	buffer_load_dwordx4 a[116:119], v234, s[16:19], 0 offen offset:1024// 00000000B9C8: E05C1400 808474EA
	v_mfma_f32_16x16x32_fp8_fp8 v[112:115], a[150:151], v[34:35], v[112:115]// 00000000B9D0: D3F30070 0DC24596
	s_waitcnt lgkmcnt(3)                                       // 00000000B9D8: BF8CC37F
	v_mfma_f32_16x16x32_fp8_fp8 v[116:119], a[120:121], v[36:37], 0// 00000000B9DC: D3F30074 0A024978
	v_mfma_f32_16x16x32_fp8_fp8 v[120:123], a[136:137], v[36:37], 0// 00000000B9E4: D3F30078 0A024988
	v_mfma_f32_16x16x32_fp8_fp8 v[116:119], a[122:123], v[38:39], v[116:119]// 00000000B9EC: D3F30074 0DD24D7A
	v_mfma_f32_16x16x32_fp8_fp8 v[120:123], a[138:139], v[38:39], v[120:123]// 00000000B9F4: D3F30078 0DE24D8A
	s_waitcnt lgkmcnt(2)                                       // 00000000B9FC: BF8CC27F
	v_mfma_f32_16x16x32_fp8_fp8 v[116:119], a[124:125], v[40:41], v[116:119]// 00000000BA00: D3F30074 0DD2517C
	v_mfma_f32_16x16x32_fp8_fp8 v[120:123], a[140:141], v[40:41], v[120:123]// 00000000BA08: D3F30078 0DE2518C
	v_mfma_f32_16x16x32_fp8_fp8 v[116:119], a[126:127], v[42:43], v[116:119]// 00000000BA10: D3F30074 0DD2557E
	v_mfma_f32_16x16x32_fp8_fp8 v[120:123], a[142:143], v[42:43], v[120:123]// 00000000BA18: D3F30078 0DE2558E
	s_waitcnt lgkmcnt(1)                                       // 00000000BA20: BF8CC17F
	v_mfma_f32_16x16x32_fp8_fp8 v[116:119], a[128:129], v[44:45], v[116:119]// 00000000BA24: D3F30074 0DD25980
	v_mfma_f32_16x16x32_fp8_fp8 v[120:123], a[144:145], v[44:45], v[120:123]// 00000000BA2C: D3F30078 0DE25990
	v_mfma_f32_16x16x32_fp8_fp8 v[116:119], a[130:131], v[46:47], v[116:119]// 00000000BA34: D3F30074 0DD25D82
	v_mfma_f32_16x16x32_fp8_fp8 v[120:123], a[146:147], v[46:47], v[120:123]// 00000000BA3C: D3F30078 0DE25D92
	s_waitcnt lgkmcnt(0)                                       // 00000000BA44: BF8CC07F
	v_mfma_f32_16x16x32_fp8_fp8 v[116:119], a[132:133], v[48:49], v[116:119]// 00000000BA48: D3F30074 0DD26184
	v_mfma_f32_16x16x32_fp8_fp8 v[120:123], a[148:149], v[48:49], v[120:123]// 00000000BA50: D3F30078 0DE26194
	v_mfma_f32_16x16x32_fp8_fp8 v[116:119], a[134:135], v[50:51], v[116:119]// 00000000BA58: D3F30074 0DD26586
	v_mfma_f32_16x16x32_fp8_fp8 v[120:123], a[150:151], v[50:51], v[120:123]// 00000000BA60: D3F30078 0DE26596
	s_addk_i32 s64, 0x100                                      // 00000000BA68: B7400100
	s_branch label_1496                                        // 00000000BA6C: BF82EF7A

000000000000ba70 <label_251C>:
	s_cmp_lt_i32 s64, s62                                      // 00000000BA70: BF043E40
	s_cbranch_scc0 label_421E                                  // 00000000BA74: BF841D00
	s_waitcnt vmcnt(10)                                        // 00000000BA78: BF8C0F7A
	v_mfma_f32_16x16x32_fp8_fp8 v[4:7], a[24:25], a[0:1], 0    // 00000000BA7C: D3F30004 1A020118
	s_add_u32 s12, s86, s69                                    // 00000000BA84: 800C4556
	s_addc_u32 s13, s87, 0                                     // 00000000BA88: 820D8057
	v_mfma_f32_16x16x32_fp8_fp8 v[4:7], a[26:27], a[2:3], v[4:7]// 00000000BA8C: D3F30004 1C12051A
	s_add_u32 s16, s88, s70                                    // 00000000BA94: 80104658
	s_addc_u32 s17, s89, 0                                     // 00000000BA98: 82118059
	v_mfma_f32_16x16x32_fp8_fp8 v[4:7], a[28:29], a[4:5], v[4:7]// 00000000BA9C: D3F30004 1C12091C
	buffer_load_dwordx4 a[56:59], v229, s[12:15], 0 offen      // 00000000BAA4: E05C1000 808338E5
	v_mfma_f32_16x16x32_fp8_fp8 v[4:7], a[30:31], a[6:7], v[4:7]// 00000000BAAC: D3F30004 1C120D1E
	s_add_u32 s20, s90, s71                                    // 00000000BAB4: 8014475A
	s_addc_u32 s21, s91, 0                                     // 00000000BAB8: 8215805B
	v_mfma_f32_16x16x32_fp8_fp8 v[8:11], a[32:33], a[0:1], 0   // 00000000BABC: D3F30008 1A020120
	s_add_u32 s24, s92, s71                                    // 00000000BAC4: 8018475C
	s_addc_u32 s25, s93, 0                                     // 00000000BAC8: 8219805D
	v_mfma_f32_16x16x32_fp8_fp8 v[8:11], a[34:35], a[2:3], v[8:11]// 00000000BACC: D3F30008 1C220522
	s_add_u32 s69, s69, 0x1000                                 // 00000000BAD4: 8045FF45 00001000
	s_add_u32 s70, s70, 0x8000                                 // 00000000BADC: 8046FF46 00008000
	v_mfma_f32_16x16x32_fp8_fp8 v[8:11], a[36:37], a[4:5], v[8:11]// 00000000BAE4: D3F30008 1C220924
	buffer_load_dwordx4 a[60:63], v230, s[12:15], 0 offen      // 00000000BAEC: E05C1000 80833CE6
	v_mfma_f32_16x16x32_fp8_fp8 v[8:11], a[38:39], a[6:7], v[8:11]// 00000000BAF4: D3F30008 1C220D26
	v_mfma_f32_16x16x32_fp8_fp8 v[12:15], a[40:41], a[0:1], 0  // 00000000BAFC: D3F3000C 1A020128
	v_mfma_f32_16x16x32_fp8_fp8 v[12:15], a[42:43], a[2:3], v[12:15]// 00000000BB04: D3F3000C 1C32052A
	v_mfma_f32_16x16x32_fp8_fp8 v[12:15], a[44:45], a[4:5], v[12:15]// 00000000BB0C: D3F3000C 1C32092C
	buffer_load_dwordx4 a[64:67], v229, s[12:15], 0 offen offset:1024// 00000000BB14: E05C1400 808340E5
	v_mfma_f32_16x16x32_fp8_fp8 v[12:15], a[46:47], a[6:7], v[12:15]// 00000000BB1C: D3F3000C 1C320D2E
	v_mfma_f32_16x16x32_fp8_fp8 v[16:19], a[48:49], a[0:1], 0  // 00000000BB24: D3F30010 1A020130
	v_mfma_f32_16x16x32_fp8_fp8 v[16:19], a[50:51], a[2:3], v[16:19]// 00000000BB2C: D3F30010 1C420532
	v_mfma_f32_16x16x32_fp8_fp8 v[16:19], a[52:53], a[4:5], v[16:19]// 00000000BB34: D3F30010 1C420934
	buffer_load_dwordx4 a[68:71], v230, s[12:15], 0 offen offset:1024// 00000000BB3C: E05C1400 808344E6
	v_mfma_f32_16x16x32_fp8_fp8 v[16:19], a[54:55], a[6:7], v[16:19]// 00000000BB44: D3F30010 1C420D36
	v_mfma_f32_16x16x32_fp8_fp8 v[20:23], a[24:25], a[8:9], 0  // 00000000BB4C: D3F30014 1A021118
	v_mfma_f32_16x16x32_fp8_fp8 v[20:23], a[26:27], a[10:11], v[20:23]// 00000000BB54: D3F30014 1C52151A
	v_mfma_f32_16x16x32_fp8_fp8 v[20:23], a[28:29], a[12:13], v[20:23]// 00000000BB5C: D3F30014 1C52191C
	buffer_load_dwordx4 a[72:75], v229, s[12:15], 0 offen offset:2048// 00000000BB64: E05C1800 808348E5
	v_mfma_f32_16x16x32_fp8_fp8 v[20:23], a[30:31], a[14:15], v[20:23]// 00000000BB6C: D3F30014 1C521D1E
	v_mfma_f32_16x16x32_fp8_fp8 v[24:27], a[32:33], a[8:9], 0  // 00000000BB74: D3F30018 1A021120
	v_mfma_f32_16x16x32_fp8_fp8 v[24:27], a[34:35], a[10:11], v[24:27]// 00000000BB7C: D3F30018 1C621522
	v_mfma_f32_16x16x32_fp8_fp8 v[24:27], a[36:37], a[12:13], v[24:27]// 00000000BB84: D3F30018 1C621924
	buffer_load_dwordx4 a[76:79], v230, s[12:15], 0 offen offset:2048// 00000000BB8C: E05C1800 80834CE6
	v_mfma_f32_16x16x32_fp8_fp8 v[24:27], a[38:39], a[14:15], v[24:27]// 00000000BB94: D3F30018 1C621D26
	v_mfma_f32_16x16x32_fp8_fp8 v[28:31], a[40:41], a[8:9], 0  // 00000000BB9C: D3F3001C 1A021128
	v_mfma_f32_16x16x32_fp8_fp8 v[28:31], a[42:43], a[10:11], v[28:31]// 00000000BBA4: D3F3001C 1C72152A
	v_mfma_f32_16x16x32_fp8_fp8 v[28:31], a[44:45], a[12:13], v[28:31]// 00000000BBAC: D3F3001C 1C72192C
	buffer_load_dwordx4 a[80:83], v229, s[12:15], 0 offen offset:3072// 00000000BBB4: E05C1C00 808350E5
	v_mfma_f32_16x16x32_fp8_fp8 v[28:31], a[46:47], a[14:15], v[28:31]// 00000000BBBC: D3F3001C 1C721D2E
	v_mfma_f32_16x16x32_fp8_fp8 v[32:35], a[48:49], a[8:9], 0  // 00000000BBC4: D3F30020 1A021130
	v_mfma_f32_16x16x32_fp8_fp8 v[32:35], a[50:51], a[10:11], v[32:35]// 00000000BBCC: D3F30020 1C821532
	v_mfma_f32_16x16x32_fp8_fp8 v[32:35], a[52:53], a[12:13], v[32:35]// 00000000BBD4: D3F30020 1C821934
	buffer_load_dwordx4 a[84:87], v230, s[12:15], 0 offen offset:3072// 00000000BBDC: E05C1C00 808354E6
	v_mfma_f32_16x16x32_fp8_fp8 v[32:35], a[54:55], a[14:15], v[32:35]// 00000000BBE4: D3F30020 1C821D36
	v_mfma_f32_16x16x32_fp8_fp8 v[36:39], a[24:25], a[16:17], 0// 00000000BBEC: D3F30024 1A022118
	v_mfma_f32_16x16x32_fp8_fp8 v[36:39], a[26:27], a[18:19], v[36:39]// 00000000BBF4: D3F30024 1C92251A
	v_mfma_f32_16x16x32_fp8_fp8 v[36:39], a[28:29], a[20:21], v[36:39]// 00000000BBFC: D3F30024 1C92291C
	v_mfma_f32_16x16x32_fp8_fp8 v[36:39], a[30:31], a[22:23], v[36:39]// 00000000BC04: D3F30024 1C922D1E
	v_mfma_f32_16x16x32_fp8_fp8 v[40:43], a[32:33], a[16:17], 0// 00000000BC0C: D3F30028 1A022120
	v_mfma_f32_16x16x32_fp8_fp8 v[40:43], a[34:35], a[18:19], v[40:43]// 00000000BC14: D3F30028 1CA22522
	v_mfma_f32_16x16x32_fp8_fp8 v[40:43], a[36:37], a[20:21], v[40:43]// 00000000BC1C: D3F30028 1CA22924
	v_mfma_f32_16x16x32_fp8_fp8 v[40:43], a[38:39], a[22:23], v[40:43]// 00000000BC24: D3F30028 1CA22D26
	v_mfma_f32_16x16x32_fp8_fp8 v[44:47], a[40:41], a[16:17], 0// 00000000BC2C: D3F3002C 1A022128
	v_mfma_f32_16x16x32_fp8_fp8 v[44:47], a[42:43], a[18:19], v[44:47]// 00000000BC34: D3F3002C 1CB2252A
	v_mfma_f32_16x16x32_fp8_fp8 v[44:47], a[44:45], a[20:21], v[44:47]// 00000000BC3C: D3F3002C 1CB2292C
	v_mfma_f32_16x16x32_fp8_fp8 v[44:47], a[46:47], a[22:23], v[44:47]// 00000000BC44: D3F3002C 1CB22D2E
	v_mfma_f32_16x16x32_fp8_fp8 v[48:51], a[48:49], a[16:17], 0// 00000000BC4C: D3F30030 1A022130
	v_mfma_f32_16x16x32_fp8_fp8 v[48:51], a[50:51], a[18:19], v[48:51]// 00000000BC54: D3F30030 1CC22532
	v_mfma_f32_16x16x32_fp8_fp8 v[48:51], a[52:53], a[20:21], v[48:51]// 00000000BC5C: D3F30030 1CC22934
	v_mfma_f32_16x16x32_fp8_fp8 v[48:51], a[54:55], a[22:23], v[48:51]// 00000000BC64: D3F30030 1CC22D36
	s_waitcnt vmcnt(16)                                        // 00000000BC6C: BF8C4F70
	v_pk_mul_f32 v[4:5], v[148:149], v[4:5]                    // 00000000BC70: D3B14004 18020994
	v_pk_mul_f32 v[6:7], v[148:149], v[6:7]                    // 00000000BC78: D3B14006 18020D94
	v_mul_f32_dpp v4, v154, v4 row_newbcast:0 row_mask:0xf bank_mask:0xf// 00000000BC80: 0A0808FA FF01509A
	v_mul_f32_dpp v5, v154, v5 row_newbcast:1 row_mask:0xf bank_mask:0xf// 00000000BC88: 0A0A0AFA FF01519A
	v_mul_f32_dpp v6, v154, v6 row_newbcast:2 row_mask:0xf bank_mask:0xf// 00000000BC90: 0A0C0CFA FF01529A
	v_mul_f32_dpp v7, v154, v7 row_newbcast:3 row_mask:0xf bank_mask:0xf// 00000000BC98: 0A0E0EFA FF01539A
	v_pk_mul_f32 v[8:9], v[148:149], v[8:9]                    // 00000000BCA0: D3B14008 18021194
	v_pk_mul_f32 v[10:11], v[148:149], v[10:11]                // 00000000BCA8: D3B1400A 18021594
	v_mul_f32_dpp v8, v154, v8 row_newbcast:4 row_mask:0xf bank_mask:0xf// 00000000BCB0: 0A1010FA FF01549A
	v_mul_f32_dpp v9, v154, v9 row_newbcast:5 row_mask:0xf bank_mask:0xf// 00000000BCB8: 0A1212FA FF01559A
	v_mul_f32_dpp v10, v154, v10 row_newbcast:6 row_mask:0xf bank_mask:0xf// 00000000BCC0: 0A1414FA FF01569A
	v_mul_f32_dpp v11, v154, v11 row_newbcast:7 row_mask:0xf bank_mask:0xf// 00000000BCC8: 0A1616FA FF01579A
	v_pk_mul_f32 v[12:13], v[148:149], v[12:13]                // 00000000BCD0: D3B1400C 18021994
	v_pk_mul_f32 v[14:15], v[148:149], v[14:15]                // 00000000BCD8: D3B1400E 18021D94
	v_mul_f32_dpp v12, v154, v12 row_newbcast:8 row_mask:0xf bank_mask:0xf// 00000000BCE0: 0A1818FA FF01589A
	v_mul_f32_dpp v13, v154, v13 row_newbcast:9 row_mask:0xf bank_mask:0xf// 00000000BCE8: 0A1A1AFA FF01599A
	v_mul_f32_dpp v14, v154, v14 row_newbcast:10 row_mask:0xf bank_mask:0xf// 00000000BCF0: 0A1C1CFA FF015A9A
	v_mul_f32_dpp v15, v154, v15 row_newbcast:11 row_mask:0xf bank_mask:0xf// 00000000BCF8: 0A1E1EFA FF015B9A
	v_pk_mul_f32 v[16:17], v[148:149], v[16:17]                // 00000000BD00: D3B14010 18022194
	v_pk_mul_f32 v[18:19], v[148:149], v[18:19]                // 00000000BD08: D3B14012 18022594
	v_mul_f32_dpp v16, v154, v16 row_newbcast:12 row_mask:0xf bank_mask:0xf// 00000000BD10: 0A2020FA FF015C9A
	v_mul_f32_dpp v17, v154, v17 row_newbcast:13 row_mask:0xf bank_mask:0xf// 00000000BD18: 0A2222FA FF015D9A
	v_mul_f32_dpp v18, v154, v18 row_newbcast:14 row_mask:0xf bank_mask:0xf// 00000000BD20: 0A2424FA FF015E9A
	v_mul_f32_dpp v19, v154, v19 row_newbcast:15 row_mask:0xf bank_mask:0xf// 00000000BD28: 0A2626FA FF015F9A
	v_pk_mul_f32 v[20:21], v[150:151], v[20:21]                // 00000000BD30: D3B14014 18022996
	v_pk_mul_f32 v[22:23], v[150:151], v[22:23]                // 00000000BD38: D3B14016 18022D96
	v_mul_f32_dpp v20, v154, v20 row_newbcast:0 row_mask:0xf bank_mask:0xf// 00000000BD40: 0A2828FA FF01509A
	v_mul_f32_dpp v21, v154, v21 row_newbcast:1 row_mask:0xf bank_mask:0xf// 00000000BD48: 0A2A2AFA FF01519A
	v_mul_f32_dpp v22, v154, v22 row_newbcast:2 row_mask:0xf bank_mask:0xf// 00000000BD50: 0A2C2CFA FF01529A
	v_mul_f32_dpp v23, v154, v23 row_newbcast:3 row_mask:0xf bank_mask:0xf// 00000000BD58: 0A2E2EFA FF01539A
	v_pk_mul_f32 v[24:25], v[150:151], v[24:25]                // 00000000BD60: D3B14018 18023196
	v_pk_mul_f32 v[26:27], v[150:151], v[26:27]                // 00000000BD68: D3B1401A 18023596
	v_mul_f32_dpp v24, v154, v24 row_newbcast:4 row_mask:0xf bank_mask:0xf// 00000000BD70: 0A3030FA FF01549A
	v_mul_f32_dpp v25, v154, v25 row_newbcast:5 row_mask:0xf bank_mask:0xf// 00000000BD78: 0A3232FA FF01559A
	v_mul_f32_dpp v26, v154, v26 row_newbcast:6 row_mask:0xf bank_mask:0xf// 00000000BD80: 0A3434FA FF01569A
	v_mul_f32_dpp v27, v154, v27 row_newbcast:7 row_mask:0xf bank_mask:0xf// 00000000BD88: 0A3636FA FF01579A
	v_pk_mul_f32 v[28:29], v[150:151], v[28:29]                // 00000000BD90: D3B1401C 18023996
	v_pk_mul_f32 v[30:31], v[150:151], v[30:31]                // 00000000BD98: D3B1401E 18023D96
	v_mul_f32_dpp v28, v154, v28 row_newbcast:8 row_mask:0xf bank_mask:0xf// 00000000BDA0: 0A3838FA FF01589A
	v_mul_f32_dpp v29, v154, v29 row_newbcast:9 row_mask:0xf bank_mask:0xf// 00000000BDA8: 0A3A3AFA FF01599A
	v_mul_f32_dpp v30, v154, v30 row_newbcast:10 row_mask:0xf bank_mask:0xf// 00000000BDB0: 0A3C3CFA FF015A9A
	v_mul_f32_dpp v31, v154, v31 row_newbcast:11 row_mask:0xf bank_mask:0xf// 00000000BDB8: 0A3E3EFA FF015B9A
	v_pk_mul_f32 v[32:33], v[150:151], v[32:33]                // 00000000BDC0: D3B14020 18024196
	v_pk_mul_f32 v[34:35], v[150:151], v[34:35]                // 00000000BDC8: D3B14022 18024596
	v_mul_f32_dpp v32, v154, v32 row_newbcast:12 row_mask:0xf bank_mask:0xf// 00000000BDD0: 0A4040FA FF015C9A
	v_mul_f32_dpp v33, v154, v33 row_newbcast:13 row_mask:0xf bank_mask:0xf// 00000000BDD8: 0A4242FA FF015D9A
	v_mul_f32_dpp v34, v154, v34 row_newbcast:14 row_mask:0xf bank_mask:0xf// 00000000BDE0: 0A4444FA FF015E9A
	v_mul_f32_dpp v35, v154, v35 row_newbcast:15 row_mask:0xf bank_mask:0xf// 00000000BDE8: 0A4646FA FF015F9A
	v_pk_mul_f32 v[36:37], v[152:153], v[36:37]                // 00000000BDF0: D3B14024 18024998
	v_pk_mul_f32 v[38:39], v[152:153], v[38:39]                // 00000000BDF8: D3B14026 18024D98
	v_mul_f32_dpp v36, v154, v36 row_newbcast:0 row_mask:0xf bank_mask:0xf// 00000000BE00: 0A4848FA FF01509A
	v_mul_f32_dpp v37, v154, v37 row_newbcast:1 row_mask:0xf bank_mask:0xf// 00000000BE08: 0A4A4AFA FF01519A
	v_mul_f32_dpp v38, v154, v38 row_newbcast:2 row_mask:0xf bank_mask:0xf// 00000000BE10: 0A4C4CFA FF01529A
	v_mul_f32_dpp v39, v154, v39 row_newbcast:3 row_mask:0xf bank_mask:0xf// 00000000BE18: 0A4E4EFA FF01539A
	v_pk_mul_f32 v[40:41], v[152:153], v[40:41]                // 00000000BE20: D3B14028 18025198
	v_pk_mul_f32 v[42:43], v[152:153], v[42:43]                // 00000000BE28: D3B1402A 18025598
	v_mul_f32_dpp v40, v154, v40 row_newbcast:4 row_mask:0xf bank_mask:0xf// 00000000BE30: 0A5050FA FF01549A
	v_mul_f32_dpp v41, v154, v41 row_newbcast:5 row_mask:0xf bank_mask:0xf// 00000000BE38: 0A5252FA FF01559A
	v_mul_f32_dpp v42, v154, v42 row_newbcast:6 row_mask:0xf bank_mask:0xf// 00000000BE40: 0A5454FA FF01569A
	v_mul_f32_dpp v43, v154, v43 row_newbcast:7 row_mask:0xf bank_mask:0xf// 00000000BE48: 0A5656FA FF01579A
	v_pk_mul_f32 v[44:45], v[152:153], v[44:45]                // 00000000BE50: D3B1402C 18025998
	v_pk_mul_f32 v[46:47], v[152:153], v[46:47]                // 00000000BE58: D3B1402E 18025D98
	v_mul_f32_dpp v44, v154, v44 row_newbcast:8 row_mask:0xf bank_mask:0xf// 00000000BE60: 0A5858FA FF01589A
	v_mul_f32_dpp v45, v154, v45 row_newbcast:9 row_mask:0xf bank_mask:0xf// 00000000BE68: 0A5A5AFA FF01599A
	v_mul_f32_dpp v46, v154, v46 row_newbcast:10 row_mask:0xf bank_mask:0xf// 00000000BE70: 0A5C5CFA FF015A9A
	v_mul_f32_dpp v47, v154, v47 row_newbcast:11 row_mask:0xf bank_mask:0xf// 00000000BE78: 0A5E5EFA FF015B9A
	v_pk_mul_f32 v[48:49], v[152:153], v[48:49]                // 00000000BE80: D3B14030 18026198
	v_pk_mul_f32 v[50:51], v[152:153], v[50:51]                // 00000000BE88: D3B14032 18026598
	v_mul_f32_dpp v48, v154, v48 row_newbcast:12 row_mask:0xf bank_mask:0xf// 00000000BE90: 0A6060FA FF015C9A
	v_mul_f32_dpp v49, v154, v49 row_newbcast:13 row_mask:0xf bank_mask:0xf// 00000000BE98: 0A6262FA FF015D9A
	v_mul_f32_dpp v50, v154, v50 row_newbcast:14 row_mask:0xf bank_mask:0xf// 00000000BEA0: 0A6464FA FF015E9A
	v_mul_f32_dpp v51, v154, v51 row_newbcast:15 row_mask:0xf bank_mask:0xf// 00000000BEA8: 0A6666FA FF015F9A
	v_add_u32_e32 v204, s64, v221                              // 00000000BEB0: 6999BA40
	v_add_u32_e32 v205, 0, v204                                // 00000000BEB4: 699B9880
	v_cmp_lt_u32_e64 s[98:99], v205, v218                      // 00000000BEB8: D0C90062 0003B5CD
	s_nop 0                                                    // 00000000BEC0: BF800000
	v_cndmask_b32_e64 v4, v222, v4, s[98:99]                   // 00000000BEC4: D1000004 018A09DE
	v_add_u32_e32 v205, 1, v204                                // 00000000BECC: 699B9881
	v_cmp_lt_u32_e64 s[98:99], v205, v218                      // 00000000BED0: D0C90062 0003B5CD
	s_nop 0                                                    // 00000000BED8: BF800000
	v_cndmask_b32_e64 v5, v222, v5, s[98:99]                   // 00000000BEDC: D1000005 018A0BDE
	v_add_u32_e32 v205, 2, v204                                // 00000000BEE4: 699B9882
	v_cmp_lt_u32_e64 s[98:99], v205, v218                      // 00000000BEE8: D0C90062 0003B5CD
	s_nop 0                                                    // 00000000BEF0: BF800000
	v_cndmask_b32_e64 v6, v222, v6, s[98:99]                   // 00000000BEF4: D1000006 018A0DDE
	v_add_u32_e32 v205, 3, v204                                // 00000000BEFC: 699B9883
	v_cmp_lt_u32_e64 s[98:99], v205, v218                      // 00000000BF00: D0C90062 0003B5CD
	s_nop 0                                                    // 00000000BF08: BF800000
	v_cndmask_b32_e64 v7, v222, v7, s[98:99]                   // 00000000BF0C: D1000007 018A0FDE
	v_add_u32_e32 v205, 64, v204                               // 00000000BF14: 699B98C0
	v_cmp_lt_u32_e64 s[98:99], v205, v218                      // 00000000BF18: D0C90062 0003B5CD
	s_nop 0                                                    // 00000000BF20: BF800000
	v_cndmask_b32_e64 v8, v222, v8, s[98:99]                   // 00000000BF24: D1000008 018A11DE
	v_add_u32_e32 v205, 0x41, v204                             // 00000000BF2C: 699B98FF 00000041
	v_cmp_lt_u32_e64 s[98:99], v205, v218                      // 00000000BF34: D0C90062 0003B5CD
	s_nop 0                                                    // 00000000BF3C: BF800000
	v_cndmask_b32_e64 v9, v222, v9, s[98:99]                   // 00000000BF40: D1000009 018A13DE
	v_add_u32_e32 v205, 0x42, v204                             // 00000000BF48: 699B98FF 00000042
	v_cmp_lt_u32_e64 s[98:99], v205, v218                      // 00000000BF50: D0C90062 0003B5CD
	s_nop 0                                                    // 00000000BF58: BF800000
	v_cndmask_b32_e64 v10, v222, v10, s[98:99]                 // 00000000BF5C: D100000A 018A15DE
	v_add_u32_e32 v205, 0x43, v204                             // 00000000BF64: 699B98FF 00000043
	v_cmp_lt_u32_e64 s[98:99], v205, v218                      // 00000000BF6C: D0C90062 0003B5CD
	s_nop 0                                                    // 00000000BF74: BF800000
	v_cndmask_b32_e64 v11, v222, v11, s[98:99]                 // 00000000BF78: D100000B 018A17DE
	v_add_u32_e32 v205, 0x80, v204                             // 00000000BF80: 699B98FF 00000080
	v_cmp_lt_u32_e64 s[98:99], v205, v218                      // 00000000BF88: D0C90062 0003B5CD
	s_nop 0                                                    // 00000000BF90: BF800000
	v_cndmask_b32_e64 v12, v222, v12, s[98:99]                 // 00000000BF94: D100000C 018A19DE
	v_add_u32_e32 v205, 0x81, v204                             // 00000000BF9C: 699B98FF 00000081
	v_cmp_lt_u32_e64 s[98:99], v205, v218                      // 00000000BFA4: D0C90062 0003B5CD
	s_nop 0                                                    // 00000000BFAC: BF800000
	v_cndmask_b32_e64 v13, v222, v13, s[98:99]                 // 00000000BFB0: D100000D 018A1BDE
	v_add_u32_e32 v205, 0x82, v204                             // 00000000BFB8: 699B98FF 00000082
	v_cmp_lt_u32_e64 s[98:99], v205, v218                      // 00000000BFC0: D0C90062 0003B5CD
	s_nop 0                                                    // 00000000BFC8: BF800000
	v_cndmask_b32_e64 v14, v222, v14, s[98:99]                 // 00000000BFCC: D100000E 018A1DDE
	v_add_u32_e32 v205, 0x83, v204                             // 00000000BFD4: 699B98FF 00000083
	v_cmp_lt_u32_e64 s[98:99], v205, v218                      // 00000000BFDC: D0C90062 0003B5CD
	s_nop 0                                                    // 00000000BFE4: BF800000
	v_cndmask_b32_e64 v15, v222, v15, s[98:99]                 // 00000000BFE8: D100000F 018A1FDE
	v_add_u32_e32 v205, 0xc0, v204                             // 00000000BFF0: 699B98FF 000000C0
	v_cmp_lt_u32_e64 s[98:99], v205, v218                      // 00000000BFF8: D0C90062 0003B5CD
	s_nop 0                                                    // 00000000C000: BF800000
	v_cndmask_b32_e64 v16, v222, v16, s[98:99]                 // 00000000C004: D1000010 018A21DE
	v_add_u32_e32 v205, 0xc1, v204                             // 00000000C00C: 699B98FF 000000C1
	v_cmp_lt_u32_e64 s[98:99], v205, v218                      // 00000000C014: D0C90062 0003B5CD
	s_nop 0                                                    // 00000000C01C: BF800000
	v_cndmask_b32_e64 v17, v222, v17, s[98:99]                 // 00000000C020: D1000011 018A23DE
	v_add_u32_e32 v205, 0xc2, v204                             // 00000000C028: 699B98FF 000000C2
	v_cmp_lt_u32_e64 s[98:99], v205, v218                      // 00000000C030: D0C90062 0003B5CD
	s_nop 0                                                    // 00000000C038: BF800000
	v_cndmask_b32_e64 v18, v222, v18, s[98:99]                 // 00000000C03C: D1000012 018A25DE
	v_add_u32_e32 v205, 0xc3, v204                             // 00000000C044: 699B98FF 000000C3
	v_cmp_lt_u32_e64 s[98:99], v205, v218                      // 00000000C04C: D0C90062 0003B5CD
	s_nop 0                                                    // 00000000C054: BF800000
	v_cndmask_b32_e64 v19, v222, v19, s[98:99]                 // 00000000C058: D1000013 018A27DE
	v_add_u32_e32 v205, 0, v204                                // 00000000C060: 699B9880
	v_cmp_lt_u32_e64 s[98:99], v205, v219                      // 00000000C064: D0C90062 0003B7CD
	s_nop 0                                                    // 00000000C06C: BF800000
	v_cndmask_b32_e64 v20, v222, v20, s[98:99]                 // 00000000C070: D1000014 018A29DE
	v_add_u32_e32 v205, 1, v204                                // 00000000C078: 699B9881
	v_cmp_lt_u32_e64 s[98:99], v205, v219                      // 00000000C07C: D0C90062 0003B7CD
	s_nop 0                                                    // 00000000C084: BF800000
	v_cndmask_b32_e64 v21, v222, v21, s[98:99]                 // 00000000C088: D1000015 018A2BDE
	v_add_u32_e32 v205, 2, v204                                // 00000000C090: 699B9882
	v_cmp_lt_u32_e64 s[98:99], v205, v219                      // 00000000C094: D0C90062 0003B7CD
	s_nop 0                                                    // 00000000C09C: BF800000
	v_cndmask_b32_e64 v22, v222, v22, s[98:99]                 // 00000000C0A0: D1000016 018A2DDE
	v_add_u32_e32 v205, 3, v204                                // 00000000C0A8: 699B9883
	v_cmp_lt_u32_e64 s[98:99], v205, v219                      // 00000000C0AC: D0C90062 0003B7CD
	s_nop 0                                                    // 00000000C0B4: BF800000
	v_cndmask_b32_e64 v23, v222, v23, s[98:99]                 // 00000000C0B8: D1000017 018A2FDE
	v_add_u32_e32 v205, 64, v204                               // 00000000C0C0: 699B98C0
	v_cmp_lt_u32_e64 s[98:99], v205, v219                      // 00000000C0C4: D0C90062 0003B7CD
	s_nop 0                                                    // 00000000C0CC: BF800000
	v_cndmask_b32_e64 v24, v222, v24, s[98:99]                 // 00000000C0D0: D1000018 018A31DE
	v_add_u32_e32 v205, 0x41, v204                             // 00000000C0D8: 699B98FF 00000041
	v_cmp_lt_u32_e64 s[98:99], v205, v219                      // 00000000C0E0: D0C90062 0003B7CD
	s_nop 0                                                    // 00000000C0E8: BF800000
	v_cndmask_b32_e64 v25, v222, v25, s[98:99]                 // 00000000C0EC: D1000019 018A33DE
	v_add_u32_e32 v205, 0x42, v204                             // 00000000C0F4: 699B98FF 00000042
	v_cmp_lt_u32_e64 s[98:99], v205, v219                      // 00000000C0FC: D0C90062 0003B7CD
	s_nop 0                                                    // 00000000C104: BF800000
	v_cndmask_b32_e64 v26, v222, v26, s[98:99]                 // 00000000C108: D100001A 018A35DE
	v_add_u32_e32 v205, 0x43, v204                             // 00000000C110: 699B98FF 00000043
	v_cmp_lt_u32_e64 s[98:99], v205, v219                      // 00000000C118: D0C90062 0003B7CD
	s_nop 0                                                    // 00000000C120: BF800000
	v_cndmask_b32_e64 v27, v222, v27, s[98:99]                 // 00000000C124: D100001B 018A37DE
	v_add_u32_e32 v205, 0x80, v204                             // 00000000C12C: 699B98FF 00000080
	v_cmp_lt_u32_e64 s[98:99], v205, v219                      // 00000000C134: D0C90062 0003B7CD
	s_nop 0                                                    // 00000000C13C: BF800000
	v_cndmask_b32_e64 v28, v222, v28, s[98:99]                 // 00000000C140: D100001C 018A39DE
	v_add_u32_e32 v205, 0x81, v204                             // 00000000C148: 699B98FF 00000081
	v_cmp_lt_u32_e64 s[98:99], v205, v219                      // 00000000C150: D0C90062 0003B7CD
	s_nop 0                                                    // 00000000C158: BF800000
	v_cndmask_b32_e64 v29, v222, v29, s[98:99]                 // 00000000C15C: D100001D 018A3BDE
	v_add_u32_e32 v205, 0x82, v204                             // 00000000C164: 699B98FF 00000082
	v_cmp_lt_u32_e64 s[98:99], v205, v219                      // 00000000C16C: D0C90062 0003B7CD
	s_nop 0                                                    // 00000000C174: BF800000
	v_cndmask_b32_e64 v30, v222, v30, s[98:99]                 // 00000000C178: D100001E 018A3DDE
	v_add_u32_e32 v205, 0x83, v204                             // 00000000C180: 699B98FF 00000083
	v_cmp_lt_u32_e64 s[98:99], v205, v219                      // 00000000C188: D0C90062 0003B7CD
	s_nop 0                                                    // 00000000C190: BF800000
	v_cndmask_b32_e64 v31, v222, v31, s[98:99]                 // 00000000C194: D100001F 018A3FDE
	v_add_u32_e32 v205, 0xc0, v204                             // 00000000C19C: 699B98FF 000000C0
	v_cmp_lt_u32_e64 s[98:99], v205, v219                      // 00000000C1A4: D0C90062 0003B7CD
	s_nop 0                                                    // 00000000C1AC: BF800000
	v_cndmask_b32_e64 v32, v222, v32, s[98:99]                 // 00000000C1B0: D1000020 018A41DE
	v_add_u32_e32 v205, 0xc1, v204                             // 00000000C1B8: 699B98FF 000000C1
	v_cmp_lt_u32_e64 s[98:99], v205, v219                      // 00000000C1C0: D0C90062 0003B7CD
	s_nop 0                                                    // 00000000C1C8: BF800000
	v_cndmask_b32_e64 v33, v222, v33, s[98:99]                 // 00000000C1CC: D1000021 018A43DE
	v_add_u32_e32 v205, 0xc2, v204                             // 00000000C1D4: 699B98FF 000000C2
	v_cmp_lt_u32_e64 s[98:99], v205, v219                      // 00000000C1DC: D0C90062 0003B7CD
	s_nop 0                                                    // 00000000C1E4: BF800000
	v_cndmask_b32_e64 v34, v222, v34, s[98:99]                 // 00000000C1E8: D1000022 018A45DE
	v_add_u32_e32 v205, 0xc3, v204                             // 00000000C1F0: 699B98FF 000000C3
	v_cmp_lt_u32_e64 s[98:99], v205, v219                      // 00000000C1F8: D0C90062 0003B7CD
	s_nop 0                                                    // 00000000C200: BF800000
	v_cndmask_b32_e64 v35, v222, v35, s[98:99]                 // 00000000C204: D1000023 018A47DE
	v_add_u32_e32 v205, 0, v204                                // 00000000C20C: 699B9880
	v_cmp_lt_u32_e64 s[98:99], v205, v220                      // 00000000C210: D0C90062 0003B9CD
	s_nop 0                                                    // 00000000C218: BF800000
	v_cndmask_b32_e64 v36, v222, v36, s[98:99]                 // 00000000C21C: D1000024 018A49DE
	v_add_u32_e32 v205, 1, v204                                // 00000000C224: 699B9881
	v_cmp_lt_u32_e64 s[98:99], v205, v220                      // 00000000C228: D0C90062 0003B9CD
	s_nop 0                                                    // 00000000C230: BF800000
	v_cndmask_b32_e64 v37, v222, v37, s[98:99]                 // 00000000C234: D1000025 018A4BDE
	v_add_u32_e32 v205, 2, v204                                // 00000000C23C: 699B9882
	v_cmp_lt_u32_e64 s[98:99], v205, v220                      // 00000000C240: D0C90062 0003B9CD
	s_nop 0                                                    // 00000000C248: BF800000
	v_cndmask_b32_e64 v38, v222, v38, s[98:99]                 // 00000000C24C: D1000026 018A4DDE
	v_add_u32_e32 v205, 3, v204                                // 00000000C254: 699B9883
	v_cmp_lt_u32_e64 s[98:99], v205, v220                      // 00000000C258: D0C90062 0003B9CD
	s_nop 0                                                    // 00000000C260: BF800000
	v_cndmask_b32_e64 v39, v222, v39, s[98:99]                 // 00000000C264: D1000027 018A4FDE
	v_add_u32_e32 v205, 64, v204                               // 00000000C26C: 699B98C0
	v_cmp_lt_u32_e64 s[98:99], v205, v220                      // 00000000C270: D0C90062 0003B9CD
	s_nop 0                                                    // 00000000C278: BF800000
	v_cndmask_b32_e64 v40, v222, v40, s[98:99]                 // 00000000C27C: D1000028 018A51DE
	v_add_u32_e32 v205, 0x41, v204                             // 00000000C284: 699B98FF 00000041
	v_cmp_lt_u32_e64 s[98:99], v205, v220                      // 00000000C28C: D0C90062 0003B9CD
	s_nop 0                                                    // 00000000C294: BF800000
	v_cndmask_b32_e64 v41, v222, v41, s[98:99]                 // 00000000C298: D1000029 018A53DE
	v_add_u32_e32 v205, 0x42, v204                             // 00000000C2A0: 699B98FF 00000042
	v_cmp_lt_u32_e64 s[98:99], v205, v220                      // 00000000C2A8: D0C90062 0003B9CD
	s_nop 0                                                    // 00000000C2B0: BF800000
	v_cndmask_b32_e64 v42, v222, v42, s[98:99]                 // 00000000C2B4: D100002A 018A55DE
	v_add_u32_e32 v205, 0x43, v204                             // 00000000C2BC: 699B98FF 00000043
	v_cmp_lt_u32_e64 s[98:99], v205, v220                      // 00000000C2C4: D0C90062 0003B9CD
	s_nop 0                                                    // 00000000C2CC: BF800000
	v_cndmask_b32_e64 v43, v222, v43, s[98:99]                 // 00000000C2D0: D100002B 018A57DE
	v_add_u32_e32 v205, 0x80, v204                             // 00000000C2D8: 699B98FF 00000080
	v_cmp_lt_u32_e64 s[98:99], v205, v220                      // 00000000C2E0: D0C90062 0003B9CD
	s_nop 0                                                    // 00000000C2E8: BF800000
	v_cndmask_b32_e64 v44, v222, v44, s[98:99]                 // 00000000C2EC: D100002C 018A59DE
	v_add_u32_e32 v205, 0x81, v204                             // 00000000C2F4: 699B98FF 00000081
	v_cmp_lt_u32_e64 s[98:99], v205, v220                      // 00000000C2FC: D0C90062 0003B9CD
	s_nop 0                                                    // 00000000C304: BF800000
	v_cndmask_b32_e64 v45, v222, v45, s[98:99]                 // 00000000C308: D100002D 018A5BDE
	v_add_u32_e32 v205, 0x82, v204                             // 00000000C310: 699B98FF 00000082
	v_cmp_lt_u32_e64 s[98:99], v205, v220                      // 00000000C318: D0C90062 0003B9CD
	s_nop 0                                                    // 00000000C320: BF800000
	v_cndmask_b32_e64 v46, v222, v46, s[98:99]                 // 00000000C324: D100002E 018A5DDE
	v_add_u32_e32 v205, 0x83, v204                             // 00000000C32C: 699B98FF 00000083
	v_cmp_lt_u32_e64 s[98:99], v205, v220                      // 00000000C334: D0C90062 0003B9CD
	s_nop 0                                                    // 00000000C33C: BF800000
	v_cndmask_b32_e64 v47, v222, v47, s[98:99]                 // 00000000C340: D100002F 018A5FDE
	v_add_u32_e32 v205, 0xc0, v204                             // 00000000C348: 699B98FF 000000C0
	v_cmp_lt_u32_e64 s[98:99], v205, v220                      // 00000000C350: D0C90062 0003B9CD
	s_nop 0                                                    // 00000000C358: BF800000
	v_cndmask_b32_e64 v48, v222, v48, s[98:99]                 // 00000000C35C: D1000030 018A61DE
	v_add_u32_e32 v205, 0xc1, v204                             // 00000000C364: 699B98FF 000000C1
	v_cmp_lt_u32_e64 s[98:99], v205, v220                      // 00000000C36C: D0C90062 0003B9CD
	s_nop 0                                                    // 00000000C374: BF800000
	v_cndmask_b32_e64 v49, v222, v49, s[98:99]                 // 00000000C378: D1000031 018A63DE
	v_add_u32_e32 v205, 0xc2, v204                             // 00000000C380: 699B98FF 000000C2
	v_cmp_lt_u32_e64 s[98:99], v205, v220                      // 00000000C388: D0C90062 0003B9CD
	s_nop 0                                                    // 00000000C390: BF800000
	v_cndmask_b32_e64 v50, v222, v50, s[98:99]                 // 00000000C394: D1000032 018A65DE
	v_add_u32_e32 v205, 0xc3, v204                             // 00000000C39C: 699B98FF 000000C3
	v_cmp_lt_u32_e64 s[98:99], v205, v220                      // 00000000C3A4: D0C90062 0003B9CD
	s_nop 0                                                    // 00000000C3AC: BF800000
	v_cndmask_b32_e64 v51, v222, v51, s[98:99]                 // 00000000C3B0: D1000033 018A67DE
	v_mov_b32_e32 v182, v4                                     // 00000000C3B8: 7F6C0304
	v_max3_f32 v182, v4, v5, v182                              // 00000000C3BC: D1D300B6 06DA0B04
	v_max3_f32 v182, v6, v7, v182                              // 00000000C3C4: D1D300B6 06DA0F06
	v_max3_f32 v182, v8, v9, v182                              // 00000000C3CC: D1D300B6 06DA1308
	v_max3_f32 v182, v10, v11, v182                            // 00000000C3D4: D1D300B6 06DA170A
	v_max3_f32 v182, v12, v13, v182                            // 00000000C3DC: D1D300B6 06DA1B0C
	v_max3_f32 v182, v14, v15, v182                            // 00000000C3E4: D1D300B6 06DA1F0E
	v_max3_f32 v182, v16, v17, v182                            // 00000000C3EC: D1D300B6 06DA2310
	v_max3_f32 v182, v18, v19, v182                            // 00000000C3F4: D1D300B6 06DA2712
	v_mov_b32_e32 v183, v20                                    // 00000000C3FC: 7F6E0314
	v_max3_f32 v183, v20, v21, v183                            // 00000000C400: D1D300B7 06DE2B14
	v_max3_f32 v183, v22, v23, v183                            // 00000000C408: D1D300B7 06DE2F16
	v_max3_f32 v183, v24, v25, v183                            // 00000000C410: D1D300B7 06DE3318
	v_max3_f32 v183, v26, v27, v183                            // 00000000C418: D1D300B7 06DE371A
	v_max3_f32 v183, v28, v29, v183                            // 00000000C420: D1D300B7 06DE3B1C
	v_max3_f32 v183, v30, v31, v183                            // 00000000C428: D1D300B7 06DE3F1E
	v_max3_f32 v183, v32, v33, v183                            // 00000000C430: D1D300B7 06DE4320
	v_max3_f32 v183, v34, v35, v183                            // 00000000C438: D1D300B7 06DE4722
	v_mov_b32_e32 v184, v36                                    // 00000000C440: 7F700324
	v_max3_f32 v184, v36, v37, v184                            // 00000000C444: D1D300B8 06E24B24
	v_max3_f32 v184, v38, v39, v184                            // 00000000C44C: D1D300B8 06E24F26
	v_max3_f32 v184, v40, v41, v184                            // 00000000C454: D1D300B8 06E25328
	v_max3_f32 v184, v42, v43, v184                            // 00000000C45C: D1D300B8 06E2572A
	v_max3_f32 v184, v44, v45, v184                            // 00000000C464: D1D300B8 06E25B2C
	v_max3_f32 v184, v46, v47, v184                            // 00000000C46C: D1D300B8 06E25F2E
	v_max3_f32 v184, v48, v49, v184                            // 00000000C474: D1D300B8 06E26330
	v_max3_f32 v184, v50, v51, v184                            // 00000000C47C: D1D300B8 06E26732
	ds_bpermute_b32 v188, v208, v182                           // 00000000C484: D87E0000 BC00B6D0
	ds_bpermute_b32 v189, v209, v182                           // 00000000C48C: D87E0000 BD00B6D1
	ds_bpermute_b32 v190, v210, v182                           // 00000000C494: D87E0000 BE00B6D2
	ds_bpermute_b32 v191, v208, v183                           // 00000000C49C: D87E0000 BF00B7D0
	ds_bpermute_b32 v192, v209, v183                           // 00000000C4A4: D87E0000 C000B7D1
	ds_bpermute_b32 v193, v210, v183                           // 00000000C4AC: D87E0000 C100B7D2
	ds_bpermute_b32 v194, v208, v184                           // 00000000C4B4: D87E0000 C200B8D0
	ds_bpermute_b32 v195, v209, v184                           // 00000000C4BC: D87E0000 C300B8D1
	ds_bpermute_b32 v196, v210, v184                           // 00000000C4C4: D87E0000 C400B8D2
	v_pk_mul_f32 v[124:125], v[170:171], v[124:125]            // 00000000C4CC: D3B1407C 1802F9AA
	v_pk_mul_f32 v[126:127], v[170:171], v[126:127]            // 00000000C4D4: D3B1407E 1802FDAA
	v_pk_mul_f32 v[128:129], v[170:171], v[128:129]            // 00000000C4DC: D3B14080 180301AA
	v_pk_mul_f32 v[130:131], v[170:171], v[130:131]            // 00000000C4E4: D3B14082 180305AA
	v_pk_mul_f32 v[132:133], v[172:173], v[132:133]            // 00000000C4EC: D3B14084 180309AC
	v_pk_mul_f32 v[134:135], v[172:173], v[134:135]            // 00000000C4F4: D3B14086 18030DAC
	v_pk_mul_f32 v[136:137], v[172:173], v[136:137]            // 00000000C4FC: D3B14088 180311AC
	v_pk_mul_f32 v[138:139], v[172:173], v[138:139]            // 00000000C504: D3B1408A 180315AC
	v_pk_mul_f32 v[140:141], v[174:175], v[140:141]            // 00000000C50C: D3B1408C 180319AE
	v_pk_mul_f32 v[142:143], v[174:175], v[142:143]            // 00000000C514: D3B1408E 18031DAE
	v_pk_mul_f32 v[144:145], v[174:175], v[144:145]            // 00000000C51C: D3B14090 180321AE
	v_pk_mul_f32 v[146:147], v[174:175], v[146:147]            // 00000000C524: D3B14092 180325AE
	s_waitcnt lgkmcnt(6)                                       // 00000000C52C: BF8CC67F
	v_max3_f32 v182, v188, v189, v182                          // 00000000C530: D1D300B6 06DB7BBC
	v_max_f32_e32 v182, v190, v182                             // 00000000C538: 176D6DBE
	s_waitcnt lgkmcnt(3)                                       // 00000000C53C: BF8CC37F
	v_max3_f32 v183, v191, v192, v183                          // 00000000C540: D1D300B7 06DF81BF
	v_max_f32_e32 v183, v193, v183                             // 00000000C548: 176F6FC1
	s_waitcnt lgkmcnt(0)                                       // 00000000C54C: BF8CC07F
	v_max3_f32 v184, v194, v195, v184                          // 00000000C550: D1D300B8 06E387C2
	v_max_f32_e32 v184, v196, v184                             // 00000000C558: 177171C4
	ds_write_b128 v249, v[182:185]                             // 00000000C55C: D9BE0000 0000B6F9
	s_waitcnt lgkmcnt(0)                                       // 00000000C564: BF8CC07F
	s_barrier                                                  // 00000000C568: BF8A0000
	ds_read_b128 v[188:191], v250                              // 00000000C56C: D9FE0000 BC0000FA
	ds_read_b128 v[192:195], v250 offset:256                   // 00000000C574: D9FE0100 C00000FA
	ds_read_b128 v[196:199], v250 offset:512                   // 00000000C57C: D9FE0200 C40000FA
	ds_read_b128 v[200:203], v250 offset:768                   // 00000000C584: D9FE0300 C80000FA
	v_pk_mul_f32 v[100:101], v[158:159], v[100:101]            // 00000000C58C: D3B14064 1802C99E
	v_pk_mul_f32 v[102:103], v[158:159], v[102:103]            // 00000000C594: D3B14066 1802CD9E
	v_pk_mul_f32 v[104:105], v[158:159], v[104:105]            // 00000000C59C: D3B14068 1802D19E
	v_pk_mul_f32 v[106:107], v[158:159], v[106:107]            // 00000000C5A4: D3B1406A 1802D59E
	v_pk_mul_f32 v[108:109], v[160:161], v[108:109]            // 00000000C5AC: D3B1406C 1802D9A0
	v_pk_mul_f32 v[110:111], v[160:161], v[110:111]            // 00000000C5B4: D3B1406E 1802DDA0
	v_pk_mul_f32 v[112:113], v[160:161], v[112:113]            // 00000000C5BC: D3B14070 1802E1A0
	v_pk_mul_f32 v[114:115], v[160:161], v[114:115]            // 00000000C5C4: D3B14072 1802E5A0
	v_pk_mul_f32 v[116:117], v[162:163], v[116:117]            // 00000000C5CC: D3B14074 1802E9A2
	v_pk_mul_f32 v[118:119], v[162:163], v[118:119]            // 00000000C5D4: D3B14076 1802EDA2
	v_pk_mul_f32 v[120:121], v[162:163], v[120:121]            // 00000000C5DC: D3B14078 1802F1A2
	v_pk_mul_f32 v[122:123], v[162:163], v[122:123]            // 00000000C5E4: D3B1407A 1802F5A2
	s_waitcnt lgkmcnt(0)                                       // 00000000C5EC: BF8CC07F
	v_max3_f32 v182, v188, v192, v182                          // 00000000C5F0: D1D300B6 06DB81BC
	v_max3_f32 v183, v189, v193, v183                          // 00000000C5F8: D1D300B7 06DF83BD
	v_max3_f32 v184, v190, v194, v184                          // 00000000C600: D1D300B8 06E385BE
	v_max3_f32 v182, v196, v200, v182                          // 00000000C608: D1D300B6 06DB91C4
	v_max3_f32 v183, v197, v201, v183                          // 00000000C610: D1D300B7 06DF93C5
	v_max3_f32 v184, v198, v202, v184                          // 00000000C618: D1D300B8 06E395C6
	v_max_f32_e32 v167, v182, v164                             // 00000000C620: 174F49B6
	v_mul_f32_e64 v204, -s46, v167                             // 00000000C624: D10500CC 20034E2E
	v_mov_b32_e32 v205, v204                                   // 00000000C62C: 7F9A03CC
	v_pk_fma_f32 v[4:5], v[4:5], s[46:47], v[204:205]          // 00000000C630: D3B04004 1F305D04
	v_pk_fma_f32 v[6:7], v[6:7], s[46:47], v[204:205]          // 00000000C638: D3B04006 1F305D06
	v_exp_f32_e32 v4, v4                                       // 00000000C640: 7E084104
	v_exp_f32_e32 v5, v5                                       // 00000000C644: 7E0A4105
	v_exp_f32_e32 v6, v6                                       // 00000000C648: 7E0C4106
	v_exp_f32_e32 v7, v7                                       // 00000000C64C: 7E0E4107
	v_pk_fma_f32 v[8:9], v[8:9], s[46:47], v[204:205]          // 00000000C650: D3B04008 1F305D08
	v_pk_fma_f32 v[10:11], v[10:11], s[46:47], v[204:205]      // 00000000C658: D3B0400A 1F305D0A
	v_exp_f32_e32 v8, v8                                       // 00000000C660: 7E104108
	v_exp_f32_e32 v9, v9                                       // 00000000C664: 7E124109
	v_exp_f32_e32 v10, v10                                     // 00000000C668: 7E14410A
	v_exp_f32_e32 v11, v11                                     // 00000000C66C: 7E16410B
	v_pk_fma_f32 v[12:13], v[12:13], s[46:47], v[204:205]      // 00000000C670: D3B0400C 1F305D0C
	v_pk_fma_f32 v[14:15], v[14:15], s[46:47], v[204:205]      // 00000000C678: D3B0400E 1F305D0E
	v_exp_f32_e32 v12, v12                                     // 00000000C680: 7E18410C
	v_exp_f32_e32 v13, v13                                     // 00000000C684: 7E1A410D
	v_exp_f32_e32 v14, v14                                     // 00000000C688: 7E1C410E
	v_exp_f32_e32 v15, v15                                     // 00000000C68C: 7E1E410F
	v_pk_fma_f32 v[16:17], v[16:17], s[46:47], v[204:205]      // 00000000C690: D3B04010 1F305D10
	v_pk_fma_f32 v[18:19], v[18:19], s[46:47], v[204:205]      // 00000000C698: D3B04012 1F305D12
	v_exp_f32_e32 v16, v16                                     // 00000000C6A0: 7E204110
	v_exp_f32_e32 v17, v17                                     // 00000000C6A4: 7E224111
	v_exp_f32_e32 v18, v18                                     // 00000000C6A8: 7E244112
	v_exp_f32_e32 v19, v19                                     // 00000000C6AC: 7E264113
	v_max_f32_e32 v168, v183, v165                             // 00000000C6B0: 17514BB7
	v_mul_f32_e64 v204, -s46, v168                             // 00000000C6B4: D10500CC 2003502E
	v_mov_b32_e32 v205, v204                                   // 00000000C6BC: 7F9A03CC
	v_pk_fma_f32 v[20:21], v[20:21], s[46:47], v[204:205]      // 00000000C6C0: D3B04014 1F305D14
	v_pk_fma_f32 v[22:23], v[22:23], s[46:47], v[204:205]      // 00000000C6C8: D3B04016 1F305D16
	v_exp_f32_e32 v20, v20                                     // 00000000C6D0: 7E284114
	v_exp_f32_e32 v21, v21                                     // 00000000C6D4: 7E2A4115
	v_exp_f32_e32 v22, v22                                     // 00000000C6D8: 7E2C4116
	v_exp_f32_e32 v23, v23                                     // 00000000C6DC: 7E2E4117
	v_pk_fma_f32 v[24:25], v[24:25], s[46:47], v[204:205]      // 00000000C6E0: D3B04018 1F305D18
	v_pk_fma_f32 v[26:27], v[26:27], s[46:47], v[204:205]      // 00000000C6E8: D3B0401A 1F305D1A
	v_exp_f32_e32 v24, v24                                     // 00000000C6F0: 7E304118
	v_exp_f32_e32 v25, v25                                     // 00000000C6F4: 7E324119
	v_exp_f32_e32 v26, v26                                     // 00000000C6F8: 7E34411A
	v_exp_f32_e32 v27, v27                                     // 00000000C6FC: 7E36411B
	v_pk_fma_f32 v[28:29], v[28:29], s[46:47], v[204:205]      // 00000000C700: D3B0401C 1F305D1C
	v_pk_fma_f32 v[30:31], v[30:31], s[46:47], v[204:205]      // 00000000C708: D3B0401E 1F305D1E
	v_exp_f32_e32 v28, v28                                     // 00000000C710: 7E38411C
	v_exp_f32_e32 v29, v29                                     // 00000000C714: 7E3A411D
	v_exp_f32_e32 v30, v30                                     // 00000000C718: 7E3C411E
	v_exp_f32_e32 v31, v31                                     // 00000000C71C: 7E3E411F
	v_pk_fma_f32 v[32:33], v[32:33], s[46:47], v[204:205]      // 00000000C720: D3B04020 1F305D20
	v_pk_fma_f32 v[34:35], v[34:35], s[46:47], v[204:205]      // 00000000C728: D3B04022 1F305D22
	v_exp_f32_e32 v32, v32                                     // 00000000C730: 7E404120
	v_exp_f32_e32 v33, v33                                     // 00000000C734: 7E424121
	v_exp_f32_e32 v34, v34                                     // 00000000C738: 7E444122
	v_exp_f32_e32 v35, v35                                     // 00000000C73C: 7E464123
	v_max_f32_e32 v169, v184, v166                             // 00000000C740: 17534DB8
	v_mul_f32_e64 v204, -s46, v169                             // 00000000C744: D10500CC 2003522E
	v_mov_b32_e32 v205, v204                                   // 00000000C74C: 7F9A03CC
	v_pk_fma_f32 v[36:37], v[36:37], s[46:47], v[204:205]      // 00000000C750: D3B04024 1F305D24
	v_pk_fma_f32 v[38:39], v[38:39], s[46:47], v[204:205]      // 00000000C758: D3B04026 1F305D26
	v_exp_f32_e32 v36, v36                                     // 00000000C760: 7E484124
	v_exp_f32_e32 v37, v37                                     // 00000000C764: 7E4A4125
	v_exp_f32_e32 v38, v38                                     // 00000000C768: 7E4C4126
	v_exp_f32_e32 v39, v39                                     // 00000000C76C: 7E4E4127
	v_pk_fma_f32 v[40:41], v[40:41], s[46:47], v[204:205]      // 00000000C770: D3B04028 1F305D28
	v_pk_fma_f32 v[42:43], v[42:43], s[46:47], v[204:205]      // 00000000C778: D3B0402A 1F305D2A
	v_exp_f32_e32 v40, v40                                     // 00000000C780: 7E504128
	v_exp_f32_e32 v41, v41                                     // 00000000C784: 7E524129
	v_exp_f32_e32 v42, v42                                     // 00000000C788: 7E54412A
	v_exp_f32_e32 v43, v43                                     // 00000000C78C: 7E56412B
	v_pk_fma_f32 v[44:45], v[44:45], s[46:47], v[204:205]      // 00000000C790: D3B0402C 1F305D2C
	v_pk_fma_f32 v[46:47], v[46:47], s[46:47], v[204:205]      // 00000000C798: D3B0402E 1F305D2E
	v_exp_f32_e32 v44, v44                                     // 00000000C7A0: 7E58412C
	v_exp_f32_e32 v45, v45                                     // 00000000C7A4: 7E5A412D
	v_exp_f32_e32 v46, v46                                     // 00000000C7A8: 7E5C412E
	v_exp_f32_e32 v47, v47                                     // 00000000C7AC: 7E5E412F
	v_pk_fma_f32 v[48:49], v[48:49], s[46:47], v[204:205]      // 00000000C7B0: D3B04030 1F305D30
	v_pk_fma_f32 v[50:51], v[50:51], s[46:47], v[204:205]      // 00000000C7B8: D3B04032 1F305D32
	v_exp_f32_e32 v48, v48                                     // 00000000C7C0: 7E604130
	v_exp_f32_e32 v49, v49                                     // 00000000C7C4: 7E624131
	v_exp_f32_e32 v50, v50                                     // 00000000C7C8: 7E644132
	v_exp_f32_e32 v51, v51                                     // 00000000C7CC: 7E664133
	v_mul_f32_dpp v52, v156, v4 row_newbcast:0 row_mask:0xf bank_mask:0xf// 00000000C7D0: 0A6808FA FF01509C
	v_mul_f32_dpp v53, v156, v5 row_newbcast:1 row_mask:0xf bank_mask:0xf// 00000000C7D8: 0A6A0AFA FF01519C
	v_mul_f32_dpp v54, v156, v6 row_newbcast:2 row_mask:0xf bank_mask:0xf// 00000000C7E0: 0A6C0CFA FF01529C
	v_mul_f32_dpp v55, v156, v7 row_newbcast:3 row_mask:0xf bank_mask:0xf// 00000000C7E8: 0A6E0EFA FF01539C
	v_mul_f32_dpp v56, v156, v8 row_newbcast:4 row_mask:0xf bank_mask:0xf// 00000000C7F0: 0A7010FA FF01549C
	v_mul_f32_dpp v57, v156, v9 row_newbcast:5 row_mask:0xf bank_mask:0xf// 00000000C7F8: 0A7212FA FF01559C
	v_mul_f32_dpp v58, v156, v10 row_newbcast:6 row_mask:0xf bank_mask:0xf// 00000000C800: 0A7414FA FF01569C
	v_mul_f32_dpp v59, v156, v11 row_newbcast:7 row_mask:0xf bank_mask:0xf// 00000000C808: 0A7616FA FF01579C
	v_mul_f32_dpp v60, v156, v12 row_newbcast:8 row_mask:0xf bank_mask:0xf// 00000000C810: 0A7818FA FF01589C
	v_mul_f32_dpp v61, v156, v13 row_newbcast:9 row_mask:0xf bank_mask:0xf// 00000000C818: 0A7A1AFA FF01599C
	v_mul_f32_dpp v62, v156, v14 row_newbcast:10 row_mask:0xf bank_mask:0xf// 00000000C820: 0A7C1CFA FF015A9C
	v_mul_f32_dpp v63, v156, v15 row_newbcast:11 row_mask:0xf bank_mask:0xf// 00000000C828: 0A7E1EFA FF015B9C
	v_mul_f32_dpp v64, v156, v16 row_newbcast:12 row_mask:0xf bank_mask:0xf// 00000000C830: 0A8020FA FF015C9C
	v_mul_f32_dpp v65, v156, v17 row_newbcast:13 row_mask:0xf bank_mask:0xf// 00000000C838: 0A8222FA FF015D9C
	v_mul_f32_dpp v66, v156, v18 row_newbcast:14 row_mask:0xf bank_mask:0xf// 00000000C840: 0A8424FA FF015E9C
	v_mul_f32_dpp v67, v156, v19 row_newbcast:15 row_mask:0xf bank_mask:0xf// 00000000C848: 0A8626FA FF015F9C
	v_mul_f32_dpp v68, v156, v20 row_newbcast:0 row_mask:0xf bank_mask:0xf// 00000000C850: 0A8828FA FF01509C
	v_mul_f32_dpp v69, v156, v21 row_newbcast:1 row_mask:0xf bank_mask:0xf// 00000000C858: 0A8A2AFA FF01519C
	v_mul_f32_dpp v70, v156, v22 row_newbcast:2 row_mask:0xf bank_mask:0xf// 00000000C860: 0A8C2CFA FF01529C
	v_mul_f32_dpp v71, v156, v23 row_newbcast:3 row_mask:0xf bank_mask:0xf// 00000000C868: 0A8E2EFA FF01539C
	v_mul_f32_dpp v72, v156, v24 row_newbcast:4 row_mask:0xf bank_mask:0xf// 00000000C870: 0A9030FA FF01549C
	v_mul_f32_dpp v73, v156, v25 row_newbcast:5 row_mask:0xf bank_mask:0xf// 00000000C878: 0A9232FA FF01559C
	v_mul_f32_dpp v74, v156, v26 row_newbcast:6 row_mask:0xf bank_mask:0xf// 00000000C880: 0A9434FA FF01569C
	v_mul_f32_dpp v75, v156, v27 row_newbcast:7 row_mask:0xf bank_mask:0xf// 00000000C888: 0A9636FA FF01579C
	v_mul_f32_dpp v76, v156, v28 row_newbcast:8 row_mask:0xf bank_mask:0xf// 00000000C890: 0A9838FA FF01589C
	v_mul_f32_dpp v77, v156, v29 row_newbcast:9 row_mask:0xf bank_mask:0xf// 00000000C898: 0A9A3AFA FF01599C
	v_mul_f32_dpp v78, v156, v30 row_newbcast:10 row_mask:0xf bank_mask:0xf// 00000000C8A0: 0A9C3CFA FF015A9C
	v_mul_f32_dpp v79, v156, v31 row_newbcast:11 row_mask:0xf bank_mask:0xf// 00000000C8A8: 0A9E3EFA FF015B9C
	v_mul_f32_dpp v80, v156, v32 row_newbcast:12 row_mask:0xf bank_mask:0xf// 00000000C8B0: 0AA040FA FF015C9C
	v_mul_f32_dpp v81, v156, v33 row_newbcast:13 row_mask:0xf bank_mask:0xf// 00000000C8B8: 0AA242FA FF015D9C
	v_mul_f32_dpp v82, v156, v34 row_newbcast:14 row_mask:0xf bank_mask:0xf// 00000000C8C0: 0AA444FA FF015E9C
	v_mul_f32_dpp v83, v156, v35 row_newbcast:15 row_mask:0xf bank_mask:0xf// 00000000C8C8: 0AA646FA FF015F9C
	v_mul_f32_dpp v84, v156, v36 row_newbcast:0 row_mask:0xf bank_mask:0xf// 00000000C8D0: 0AA848FA FF01509C
	v_mul_f32_dpp v85, v156, v37 row_newbcast:1 row_mask:0xf bank_mask:0xf// 00000000C8D8: 0AAA4AFA FF01519C
	v_mul_f32_dpp v86, v156, v38 row_newbcast:2 row_mask:0xf bank_mask:0xf// 00000000C8E0: 0AAC4CFA FF01529C
	v_mul_f32_dpp v87, v156, v39 row_newbcast:3 row_mask:0xf bank_mask:0xf// 00000000C8E8: 0AAE4EFA FF01539C
	v_mul_f32_dpp v88, v156, v40 row_newbcast:4 row_mask:0xf bank_mask:0xf// 00000000C8F0: 0AB050FA FF01549C
	v_mul_f32_dpp v89, v156, v41 row_newbcast:5 row_mask:0xf bank_mask:0xf// 00000000C8F8: 0AB252FA FF01559C
	v_mul_f32_dpp v90, v156, v42 row_newbcast:6 row_mask:0xf bank_mask:0xf// 00000000C900: 0AB454FA FF01569C
	v_mul_f32_dpp v91, v156, v43 row_newbcast:7 row_mask:0xf bank_mask:0xf// 00000000C908: 0AB656FA FF01579C
	v_mul_f32_dpp v92, v156, v44 row_newbcast:8 row_mask:0xf bank_mask:0xf// 00000000C910: 0AB858FA FF01589C
	v_mul_f32_dpp v93, v156, v45 row_newbcast:9 row_mask:0xf bank_mask:0xf// 00000000C918: 0ABA5AFA FF01599C
	v_mul_f32_dpp v94, v156, v46 row_newbcast:10 row_mask:0xf bank_mask:0xf// 00000000C920: 0ABC5CFA FF015A9C
	v_mul_f32_dpp v95, v156, v47 row_newbcast:11 row_mask:0xf bank_mask:0xf// 00000000C928: 0ABE5EFA FF015B9C
	v_mul_f32_dpp v96, v156, v48 row_newbcast:12 row_mask:0xf bank_mask:0xf// 00000000C930: 0AC060FA FF015C9C
	v_mul_f32_dpp v97, v156, v49 row_newbcast:13 row_mask:0xf bank_mask:0xf// 00000000C938: 0AC262FA FF015D9C
	v_mul_f32_dpp v98, v156, v50 row_newbcast:14 row_mask:0xf bank_mask:0xf// 00000000C940: 0AC464FA FF015E9C
	v_mul_f32_dpp v99, v156, v51 row_newbcast:15 row_mask:0xf bank_mask:0xf// 00000000C948: 0AC666FA FF015F9C
	v_add_u32_e32 v204, s64, v221                              // 00000000C950: 6999BA40
	v_add_u32_e32 v205, 0, v204                                // 00000000C954: 699B9880
	v_cmp_lt_u32_e32 vcc, v205, v218                           // 00000000C958: 7D93B5CD
	v_cndmask_b32_e32 v52, 0, v52, vcc                         // 00000000C95C: 00686880
	v_cmp_lt_u32_e32 vcc, v205, v219                           // 00000000C960: 7D93B7CD
	v_cndmask_b32_e32 v68, 0, v68, vcc                         // 00000000C964: 00888880
	v_cmp_lt_u32_e32 vcc, v205, v220                           // 00000000C968: 7D93B9CD
	v_cndmask_b32_e32 v84, 0, v84, vcc                         // 00000000C96C: 00A8A880
	v_add_u32_e32 v205, 1, v204                                // 00000000C970: 699B9881
	v_cmp_lt_u32_e32 vcc, v205, v218                           // 00000000C974: 7D93B5CD
	v_cndmask_b32_e32 v53, 0, v53, vcc                         // 00000000C978: 006A6A80
	v_cmp_lt_u32_e32 vcc, v205, v219                           // 00000000C97C: 7D93B7CD
	v_cndmask_b32_e32 v69, 0, v69, vcc                         // 00000000C980: 008A8A80
	v_cmp_lt_u32_e32 vcc, v205, v220                           // 00000000C984: 7D93B9CD
	v_cndmask_b32_e32 v85, 0, v85, vcc                         // 00000000C988: 00AAAA80
	v_add_u32_e32 v205, 2, v204                                // 00000000C98C: 699B9882
	v_cmp_lt_u32_e32 vcc, v205, v218                           // 00000000C990: 7D93B5CD
	v_cndmask_b32_e32 v54, 0, v54, vcc                         // 00000000C994: 006C6C80
	v_cmp_lt_u32_e32 vcc, v205, v219                           // 00000000C998: 7D93B7CD
	v_cndmask_b32_e32 v70, 0, v70, vcc                         // 00000000C99C: 008C8C80
	v_cmp_lt_u32_e32 vcc, v205, v220                           // 00000000C9A0: 7D93B9CD
	v_cndmask_b32_e32 v86, 0, v86, vcc                         // 00000000C9A4: 00ACAC80
	v_add_u32_e32 v205, 3, v204                                // 00000000C9A8: 699B9883
	v_cmp_lt_u32_e32 vcc, v205, v218                           // 00000000C9AC: 7D93B5CD
	v_cndmask_b32_e32 v55, 0, v55, vcc                         // 00000000C9B0: 006E6E80
	v_cmp_lt_u32_e32 vcc, v205, v219                           // 00000000C9B4: 7D93B7CD
	v_cndmask_b32_e32 v71, 0, v71, vcc                         // 00000000C9B8: 008E8E80
	v_cmp_lt_u32_e32 vcc, v205, v220                           // 00000000C9BC: 7D93B9CD
	v_cndmask_b32_e32 v87, 0, v87, vcc                         // 00000000C9C0: 00AEAE80
	v_add_u32_e32 v205, 64, v204                               // 00000000C9C4: 699B98C0
	v_cmp_lt_u32_e32 vcc, v205, v218                           // 00000000C9C8: 7D93B5CD
	v_cndmask_b32_e32 v56, 0, v56, vcc                         // 00000000C9CC: 00707080
	v_cmp_lt_u32_e32 vcc, v205, v219                           // 00000000C9D0: 7D93B7CD
	v_cndmask_b32_e32 v72, 0, v72, vcc                         // 00000000C9D4: 00909080
	v_cmp_lt_u32_e32 vcc, v205, v220                           // 00000000C9D8: 7D93B9CD
	v_cndmask_b32_e32 v88, 0, v88, vcc                         // 00000000C9DC: 00B0B080
	v_add_u32_e32 v205, 0x41, v204                             // 00000000C9E0: 699B98FF 00000041
	v_cmp_lt_u32_e32 vcc, v205, v218                           // 00000000C9E8: 7D93B5CD
	v_cndmask_b32_e32 v57, 0, v57, vcc                         // 00000000C9EC: 00727280
	v_cmp_lt_u32_e32 vcc, v205, v219                           // 00000000C9F0: 7D93B7CD
	v_cndmask_b32_e32 v73, 0, v73, vcc                         // 00000000C9F4: 00929280
	v_cmp_lt_u32_e32 vcc, v205, v220                           // 00000000C9F8: 7D93B9CD
	v_cndmask_b32_e32 v89, 0, v89, vcc                         // 00000000C9FC: 00B2B280
	v_add_u32_e32 v205, 0x42, v204                             // 00000000CA00: 699B98FF 00000042
	v_cmp_lt_u32_e32 vcc, v205, v218                           // 00000000CA08: 7D93B5CD
	v_cndmask_b32_e32 v58, 0, v58, vcc                         // 00000000CA0C: 00747480
	v_cmp_lt_u32_e32 vcc, v205, v219                           // 00000000CA10: 7D93B7CD
	v_cndmask_b32_e32 v74, 0, v74, vcc                         // 00000000CA14: 00949480
	v_cmp_lt_u32_e32 vcc, v205, v220                           // 00000000CA18: 7D93B9CD
	v_cndmask_b32_e32 v90, 0, v90, vcc                         // 00000000CA1C: 00B4B480
	v_add_u32_e32 v205, 0x43, v204                             // 00000000CA20: 699B98FF 00000043
	v_cmp_lt_u32_e32 vcc, v205, v218                           // 00000000CA28: 7D93B5CD
	v_cndmask_b32_e32 v59, 0, v59, vcc                         // 00000000CA2C: 00767680
	v_cmp_lt_u32_e32 vcc, v205, v219                           // 00000000CA30: 7D93B7CD
	v_cndmask_b32_e32 v75, 0, v75, vcc                         // 00000000CA34: 00969680
	v_cmp_lt_u32_e32 vcc, v205, v220                           // 00000000CA38: 7D93B9CD
	v_cndmask_b32_e32 v91, 0, v91, vcc                         // 00000000CA3C: 00B6B680
	v_add_u32_e32 v205, 0x80, v204                             // 00000000CA40: 699B98FF 00000080
	v_cmp_lt_u32_e32 vcc, v205, v218                           // 00000000CA48: 7D93B5CD
	v_cndmask_b32_e32 v60, 0, v60, vcc                         // 00000000CA4C: 00787880
	v_cmp_lt_u32_e32 vcc, v205, v219                           // 00000000CA50: 7D93B7CD
	v_cndmask_b32_e32 v76, 0, v76, vcc                         // 00000000CA54: 00989880
	v_cmp_lt_u32_e32 vcc, v205, v220                           // 00000000CA58: 7D93B9CD
	v_cndmask_b32_e32 v92, 0, v92, vcc                         // 00000000CA5C: 00B8B880
	v_add_u32_e32 v205, 0x81, v204                             // 00000000CA60: 699B98FF 00000081
	v_cmp_lt_u32_e32 vcc, v205, v218                           // 00000000CA68: 7D93B5CD
	v_cndmask_b32_e32 v61, 0, v61, vcc                         // 00000000CA6C: 007A7A80
	v_cmp_lt_u32_e32 vcc, v205, v219                           // 00000000CA70: 7D93B7CD
	v_cndmask_b32_e32 v77, 0, v77, vcc                         // 00000000CA74: 009A9A80
	v_cmp_lt_u32_e32 vcc, v205, v220                           // 00000000CA78: 7D93B9CD
	v_cndmask_b32_e32 v93, 0, v93, vcc                         // 00000000CA7C: 00BABA80
	v_add_u32_e32 v205, 0x82, v204                             // 00000000CA80: 699B98FF 00000082
	v_cmp_lt_u32_e32 vcc, v205, v218                           // 00000000CA88: 7D93B5CD
	v_cndmask_b32_e32 v62, 0, v62, vcc                         // 00000000CA8C: 007C7C80
	v_cmp_lt_u32_e32 vcc, v205, v219                           // 00000000CA90: 7D93B7CD
	v_cndmask_b32_e32 v78, 0, v78, vcc                         // 00000000CA94: 009C9C80
	v_cmp_lt_u32_e32 vcc, v205, v220                           // 00000000CA98: 7D93B9CD
	v_cndmask_b32_e32 v94, 0, v94, vcc                         // 00000000CA9C: 00BCBC80
	v_add_u32_e32 v205, 0x83, v204                             // 00000000CAA0: 699B98FF 00000083
	v_cmp_lt_u32_e32 vcc, v205, v218                           // 00000000CAA8: 7D93B5CD
	v_cndmask_b32_e32 v63, 0, v63, vcc                         // 00000000CAAC: 007E7E80
	v_cmp_lt_u32_e32 vcc, v205, v219                           // 00000000CAB0: 7D93B7CD
	v_cndmask_b32_e32 v79, 0, v79, vcc                         // 00000000CAB4: 009E9E80
	v_cmp_lt_u32_e32 vcc, v205, v220                           // 00000000CAB8: 7D93B9CD
	v_cndmask_b32_e32 v95, 0, v95, vcc                         // 00000000CABC: 00BEBE80
	v_add_u32_e32 v205, 0xc0, v204                             // 00000000CAC0: 699B98FF 000000C0
	v_cmp_lt_u32_e32 vcc, v205, v218                           // 00000000CAC8: 7D93B5CD
	v_cndmask_b32_e32 v64, 0, v64, vcc                         // 00000000CACC: 00808080
	v_cmp_lt_u32_e32 vcc, v205, v219                           // 00000000CAD0: 7D93B7CD
	v_cndmask_b32_e32 v80, 0, v80, vcc                         // 00000000CAD4: 00A0A080
	v_cmp_lt_u32_e32 vcc, v205, v220                           // 00000000CAD8: 7D93B9CD
	v_cndmask_b32_e32 v96, 0, v96, vcc                         // 00000000CADC: 00C0C080
	v_add_u32_e32 v205, 0xc1, v204                             // 00000000CAE0: 699B98FF 000000C1
	v_cmp_lt_u32_e32 vcc, v205, v218                           // 00000000CAE8: 7D93B5CD
	v_cndmask_b32_e32 v65, 0, v65, vcc                         // 00000000CAEC: 00828280
	v_cmp_lt_u32_e32 vcc, v205, v219                           // 00000000CAF0: 7D93B7CD
	v_cndmask_b32_e32 v81, 0, v81, vcc                         // 00000000CAF4: 00A2A280
	v_cmp_lt_u32_e32 vcc, v205, v220                           // 00000000CAF8: 7D93B9CD
	v_cndmask_b32_e32 v97, 0, v97, vcc                         // 00000000CAFC: 00C2C280
	v_add_u32_e32 v205, 0xc2, v204                             // 00000000CB00: 699B98FF 000000C2
	v_cmp_lt_u32_e32 vcc, v205, v218                           // 00000000CB08: 7D93B5CD
	v_cndmask_b32_e32 v66, 0, v66, vcc                         // 00000000CB0C: 00848480
	v_cmp_lt_u32_e32 vcc, v205, v219                           // 00000000CB10: 7D93B7CD
	v_cndmask_b32_e32 v82, 0, v82, vcc                         // 00000000CB14: 00A4A480
	v_cmp_lt_u32_e32 vcc, v205, v220                           // 00000000CB18: 7D93B9CD
	v_cndmask_b32_e32 v98, 0, v98, vcc                         // 00000000CB1C: 00C4C480
	v_add_u32_e32 v205, 0xc3, v204                             // 00000000CB20: 699B98FF 000000C3
	v_cmp_lt_u32_e32 vcc, v205, v218                           // 00000000CB28: 7D93B5CD
	v_cndmask_b32_e32 v67, 0, v67, vcc                         // 00000000CB2C: 00868680
	v_cmp_lt_u32_e32 vcc, v205, v219                           // 00000000CB30: 7D93B7CD
	v_cndmask_b32_e32 v83, 0, v83, vcc                         // 00000000CB34: 00A6A680
	v_cmp_lt_u32_e32 vcc, v205, v220                           // 00000000CB38: 7D93B9CD
	v_cndmask_b32_e32 v99, 0, v99, vcc                         // 00000000CB3C: 00C6C680
	buffer_load_dword v155, v235, s[20:23], 0 offen            // 00000000CB40: E0501000 80059BEB
	v_sub_f32_e32 v170, v164, v167                             // 00000000CB48: 05554FA4
	v_cmp_eq_u32_e64 s[98:99], v222, v164                      // 00000000CB4C: D0CA0062 000349DE
	v_cndmask_b32_e64 v170, v170, 0, s[98:99]                  // 00000000CB54: D10000AA 018901AA
	v_mov_b32_e32 v164, v167                                   // 00000000CB5C: 7F4803A7
	v_mul_f32_e32 v170, s46, v170                              // 00000000CB60: 0B55542E
	v_exp_f32_e32 v170, v170                                   // 00000000CB64: 7F5441AA
	v_sub_f32_e32 v172, v165, v168                             // 00000000CB68: 055951A5
	v_cmp_eq_u32_e64 s[98:99], v222, v165                      // 00000000CB6C: D0CA0062 00034BDE
	v_cndmask_b32_e64 v172, v172, 0, s[98:99]                  // 00000000CB74: D10000AC 018901AC
	v_mov_b32_e32 v165, v168                                   // 00000000CB7C: 7F4A03A8
	v_mul_f32_e32 v172, s46, v172                              // 00000000CB80: 0B59582E
	v_exp_f32_e32 v172, v172                                   // 00000000CB84: 7F5841AC
	v_sub_f32_e32 v174, v166, v169                             // 00000000CB88: 055D53A6
	v_cmp_eq_u32_e64 s[98:99], v222, v166                      // 00000000CB8C: D0CA0062 00034DDE
	v_cndmask_b32_e64 v174, v174, 0, s[98:99]                  // 00000000CB94: D10000AE 018901AE
	v_mov_b32_e32 v166, v169                                   // 00000000CB9C: 7F4C03A9
	v_mul_f32_e32 v174, s46, v174                              // 00000000CBA0: 0B5D5C2E
	v_exp_f32_e32 v174, v174                                   // 00000000CBA4: 7F5C41AE
	v_mov_b32_e32 v171, v170                                   // 00000000CBA8: 7F5603AA
	v_mov_b32_e32 v173, v172                                   // 00000000CBAC: 7F5A03AC
	v_mov_b32_e32 v175, v174                                   // 00000000CBB0: 7F5E03AE
	s_waitcnt lgkmcnt(0)                                       // 00000000CBB4: BF8CC07F
	s_barrier                                                  // 00000000CBB8: BF8A0000
	buffer_load_dword v157, v236, s[24:27], 0 offen            // 00000000CBBC: E0501000 80069DEC
	v_mul_f32_e32 v176, v170, v176                             // 00000000CBC4: 0B6161AA
	v_mov_b32_e32 v177, 0                                      // 00000000CBC8: 7F620280
	v_pk_add_f32 v[176:177], v[4:5], v[176:177]                // 00000000CBCC: D3B240B0 18036104
	v_pk_add_f32 v[176:177], v[6:7], v[176:177]                // 00000000CBD4: D3B240B0 18036106
	v_pk_add_f32 v[176:177], v[8:9], v[176:177]                // 00000000CBDC: D3B240B0 18036108
	v_pk_add_f32 v[176:177], v[10:11], v[176:177]              // 00000000CBE4: D3B240B0 1803610A
	v_pk_add_f32 v[176:177], v[12:13], v[176:177]              // 00000000CBEC: D3B240B0 1803610C
	v_pk_add_f32 v[176:177], v[14:15], v[176:177]              // 00000000CBF4: D3B240B0 1803610E
	v_pk_add_f32 v[176:177], v[16:17], v[176:177]              // 00000000CBFC: D3B240B0 18036110
	v_pk_add_f32 v[176:177], v[18:19], v[176:177]              // 00000000CC04: D3B240B0 18036112
	v_add_f32_e32 v176, v177, v176                             // 00000000CC0C: 036161B1
	v_mul_f32_e32 v178, v172, v178                             // 00000000CC10: 0B6565AC
	v_mov_b32_e32 v179, 0                                      // 00000000CC14: 7F660280
	v_pk_add_f32 v[178:179], v[20:21], v[178:179]              // 00000000CC18: D3B240B2 18036514
	v_pk_add_f32 v[178:179], v[22:23], v[178:179]              // 00000000CC20: D3B240B2 18036516
	v_pk_add_f32 v[178:179], v[24:25], v[178:179]              // 00000000CC28: D3B240B2 18036518
	v_pk_add_f32 v[178:179], v[26:27], v[178:179]              // 00000000CC30: D3B240B2 1803651A
	v_pk_add_f32 v[178:179], v[28:29], v[178:179]              // 00000000CC38: D3B240B2 1803651C
	v_pk_add_f32 v[178:179], v[30:31], v[178:179]              // 00000000CC40: D3B240B2 1803651E
	v_pk_add_f32 v[178:179], v[32:33], v[178:179]              // 00000000CC48: D3B240B2 18036520
	v_pk_add_f32 v[178:179], v[34:35], v[178:179]              // 00000000CC50: D3B240B2 18036522
	v_add_f32_e32 v178, v179, v178                             // 00000000CC58: 036565B3
	v_mul_f32_e32 v180, v174, v180                             // 00000000CC5C: 0B6969AE
	v_mov_b32_e32 v181, 0                                      // 00000000CC60: 7F6A0280
	v_pk_add_f32 v[180:181], v[36:37], v[180:181]              // 00000000CC64: D3B240B4 18036924
	v_pk_add_f32 v[180:181], v[38:39], v[180:181]              // 00000000CC6C: D3B240B4 18036926
	v_pk_add_f32 v[180:181], v[40:41], v[180:181]              // 00000000CC74: D3B240B4 18036928
	v_pk_add_f32 v[180:181], v[42:43], v[180:181]              // 00000000CC7C: D3B240B4 1803692A
	v_pk_add_f32 v[180:181], v[44:45], v[180:181]              // 00000000CC84: D3B240B4 1803692C
	v_pk_add_f32 v[180:181], v[46:47], v[180:181]              // 00000000CC8C: D3B240B4 1803692E
	v_pk_add_f32 v[180:181], v[48:49], v[180:181]              // 00000000CC94: D3B240B4 18036930
	v_pk_add_f32 v[180:181], v[50:51], v[180:181]              // 00000000CC9C: D3B240B4 18036932
	v_add_f32_e32 v180, v181, v180                             // 00000000CCA4: 036969B5
	s_waitcnt lgkmcnt(0)                                       // 00000000CCA8: BF8CC07F
	v_sub_f32_e32 v182, v182, v164                             // 00000000CCAC: 056D49B6
	v_sub_f32_e32 v183, v183, v165                             // 00000000CCB0: 056F4BB7
	v_sub_f32_e32 v184, v184, v166                             // 00000000CCB4: 05714DB8
	v_mul_f32_e32 v182, s46, v182                              // 00000000CCB8: 0B6D6C2E
	v_mul_f32_e32 v183, s46, v183                              // 00000000CCBC: 0B6F6E2E
	v_mul_f32_e32 v184, s46, v184                              // 00000000CCC0: 0B71702E
	v_exp_f32_e32 v182, v182                                   // 00000000CCC4: 7F6C41B6
	v_exp_f32_e32 v183, v183                                   // 00000000CCC8: 7F6E41B7
	v_exp_f32_e32 v184, v184                                   // 00000000CCCC: 7F7041B8
	v_mul_f32_e32 v182, v156, v182                             // 00000000CCD0: 0B6D6D9C
	v_mul_f32_e32 v183, v156, v183                             // 00000000CCD4: 0B6F6F9C
	v_mul_f32_e32 v184, v156, v184                             // 00000000CCD8: 0B71719C
	v_add_f32_e32 v182, 0x3089705f, v182                       // 00000000CCDC: 036D6CFF 3089705F
	v_add_f32_e32 v183, 0x3089705f, v183                       // 00000000CCE4: 036F6EFF 3089705F
	v_add_f32_e32 v184, 0x3089705f, v184                       // 00000000CCEC: 037170FF 3089705F
	v_rcp_f32_e32 v182, v182                                   // 00000000CCF4: 7F6C45B6
	v_rcp_f32_e32 v183, v183                                   // 00000000CCF8: 7F6E45B7
	v_rcp_f32_e32 v184, v184                                   // 00000000CCFC: 7F7045B8
	v_mul_f32_e32 v182, 0x43700000, v182                       // 00000000CD00: 0B6D6CFF 43700000
	v_mul_f32_e32 v183, 0x43700000, v183                       // 00000000CD08: 0B6F6EFF 43700000
	v_mul_f32_e32 v184, 0x43700000, v184                       // 00000000CD10: 0B7170FF 43700000
	v_mov_b32_e32 v186, v184                                   // 00000000CD18: 7F7403B8
	v_mov_b32_e32 v187, v184                                   // 00000000CD1C: 7F7603B8
	v_mov_b32_e32 v184, v183                                   // 00000000CD20: 7F7003B7
	v_mov_b32_e32 v185, v183                                   // 00000000CD24: 7F7203B7
	v_mov_b32_e32 v183, v182                                   // 00000000CD28: 7F6E03B6
	v_pk_mul_f32 v[4:5], v[182:183], v[52:53]                  // 00000000CD2C: D3B14004 180269B6
	v_pk_mul_f32 v[6:7], v[182:183], v[54:55]                  // 00000000CD34: D3B14006 18026DB6
	v_pk_mul_f32 v[8:9], v[182:183], v[56:57]                  // 00000000CD3C: D3B14008 180271B6
	v_pk_mul_f32 v[10:11], v[182:183], v[58:59]                // 00000000CD44: D3B1400A 180275B6
	v_pk_mul_f32 v[12:13], v[182:183], v[60:61]                // 00000000CD4C: D3B1400C 180279B6
	v_pk_mul_f32 v[14:15], v[182:183], v[62:63]                // 00000000CD54: D3B1400E 18027DB6
	v_pk_mul_f32 v[16:17], v[182:183], v[64:65]                // 00000000CD5C: D3B14010 180281B6
	v_pk_mul_f32 v[18:19], v[182:183], v[66:67]                // 00000000CD64: D3B14012 180285B6
	v_pk_mul_f32 v[20:21], v[184:185], v[68:69]                // 00000000CD6C: D3B14014 180289B8
	v_pk_mul_f32 v[22:23], v[184:185], v[70:71]                // 00000000CD74: D3B14016 18028DB8
	v_pk_mul_f32 v[24:25], v[184:185], v[72:73]                // 00000000CD7C: D3B14018 180291B8
	v_pk_mul_f32 v[26:27], v[184:185], v[74:75]                // 00000000CD84: D3B1401A 180295B8
	v_pk_mul_f32 v[28:29], v[184:185], v[76:77]                // 00000000CD8C: D3B1401C 180299B8
	v_pk_mul_f32 v[30:31], v[184:185], v[78:79]                // 00000000CD94: D3B1401E 18029DB8
	v_pk_mul_f32 v[32:33], v[184:185], v[80:81]                // 00000000CD9C: D3B14020 1802A1B8
	v_pk_mul_f32 v[34:35], v[184:185], v[82:83]                // 00000000CDA4: D3B14022 1802A5B8
	v_pk_mul_f32 v[36:37], v[186:187], v[84:85]                // 00000000CDAC: D3B14024 1802A9BA
	v_pk_mul_f32 v[38:39], v[186:187], v[86:87]                // 00000000CDB4: D3B14026 1802ADBA
	v_pk_mul_f32 v[40:41], v[186:187], v[88:89]                // 00000000CDBC: D3B14028 1802B1BA
	v_pk_mul_f32 v[42:43], v[186:187], v[90:91]                // 00000000CDC4: D3B1402A 1802B5BA
	v_pk_mul_f32 v[44:45], v[186:187], v[92:93]                // 00000000CDCC: D3B1402C 1802B9BA
	v_pk_mul_f32 v[46:47], v[186:187], v[94:95]                // 00000000CDD4: D3B1402E 1802BDBA
	v_pk_mul_f32 v[48:49], v[186:187], v[96:97]                // 00000000CDDC: D3B14030 1802C1BA
	v_pk_mul_f32 v[50:51], v[186:187], v[98:99]                // 00000000CDE4: D3B14032 1802C5BA
	v_cvt_pk_fp8_f32 v4, v4, v5                                // 00000000CDEC: D2A20004 00020B04
	v_cvt_pk_fp8_f32 v4, v6, v7 op_sel:[0,0,1]                 // 00000000CDF4: D2A24004 00020F06
	v_cvt_pk_fp8_f32 v5, v8, v9                                // 00000000CDFC: D2A20005 00021308
	v_cvt_pk_fp8_f32 v5, v10, v11 op_sel:[0,0,1]               // 00000000CE04: D2A24005 0002170A
	v_cvt_pk_fp8_f32 v6, v12, v13                              // 00000000CE0C: D2A20006 00021B0C
	v_cvt_pk_fp8_f32 v6, v14, v15 op_sel:[0,0,1]               // 00000000CE14: D2A24006 00021F0E
	v_cvt_pk_fp8_f32 v7, v16, v17                              // 00000000CE1C: D2A20007 00022310
	v_cvt_pk_fp8_f32 v7, v18, v19 op_sel:[0,0,1]               // 00000000CE24: D2A24007 00022712
	v_cvt_pk_fp8_f32 v8, v20, v21                              // 00000000CE2C: D2A20008 00022B14
	v_cvt_pk_fp8_f32 v8, v22, v23 op_sel:[0,0,1]               // 00000000CE34: D2A24008 00022F16
	v_cvt_pk_fp8_f32 v9, v24, v25                              // 00000000CE3C: D2A20009 00023318
	v_cvt_pk_fp8_f32 v9, v26, v27 op_sel:[0,0,1]               // 00000000CE44: D2A24009 0002371A
	v_cvt_pk_fp8_f32 v10, v28, v29                             // 00000000CE4C: D2A2000A 00023B1C
	v_cvt_pk_fp8_f32 v10, v30, v31 op_sel:[0,0,1]              // 00000000CE54: D2A2400A 00023F1E
	v_cvt_pk_fp8_f32 v11, v32, v33                             // 00000000CE5C: D2A2000B 00024320
	v_cvt_pk_fp8_f32 v11, v34, v35 op_sel:[0,0,1]              // 00000000CE64: D2A2400B 00024722
	v_cvt_pk_fp8_f32 v12, v36, v37                             // 00000000CE6C: D2A2000C 00024B24
	v_cvt_pk_fp8_f32 v12, v38, v39 op_sel:[0,0,1]              // 00000000CE74: D2A2400C 00024F26
	v_cvt_pk_fp8_f32 v13, v40, v41                             // 00000000CE7C: D2A2000D 00025328
	v_cvt_pk_fp8_f32 v13, v42, v43 op_sel:[0,0,1]              // 00000000CE84: D2A2400D 0002572A
	v_cvt_pk_fp8_f32 v14, v44, v45                             // 00000000CE8C: D2A2000E 00025B2C
	v_cvt_pk_fp8_f32 v14, v46, v47 op_sel:[0,0,1]              // 00000000CE94: D2A2400E 00025F2E
	v_cvt_pk_fp8_f32 v15, v48, v49                             // 00000000CE9C: D2A2000F 00026330
	v_cvt_pk_fp8_f32 v15, v50, v51 op_sel:[0,0,1]              // 00000000CEA4: D2A2400F 00026732
	ds_write_b32 v251, v4 offset:8192                          // 00000000CEAC: D81A2000 000004FB
	ds_write_b32 v251, v5 offset:9216                          // 00000000CEB4: D81A2400 000005FB
	ds_write_b32 v251, v6 offset:10240                         // 00000000CEBC: D81A2800 000006FB
	ds_write_b32 v251, v7 offset:11264                         // 00000000CEC4: D81A2C00 000007FB
	ds_write_b32 v251, v8 offset:12288                         // 00000000CECC: D81A3000 000008FB
	ds_write_b32 v251, v9 offset:13312                         // 00000000CED4: D81A3400 000009FB
	ds_write_b32 v251, v10 offset:14336                        // 00000000CEDC: D81A3800 00000AFB
	ds_write_b32 v251, v11 offset:15360                        // 00000000CEE4: D81A3C00 00000BFB
	ds_write_b32 v251, v12 offset:16384                        // 00000000CEEC: D81A4000 00000CFB
	ds_write_b32 v251, v13 offset:17408                        // 00000000CEF4: D81A4400 00000DFB
	ds_write_b32 v251, v14 offset:18432                        // 00000000CEFC: D81A4800 00000EFB
	ds_write_b32 v251, v15 offset:19456                        // 00000000CF04: D81A4C00 00000FFB
	v_rcp_f32_e32 v158, v182                                   // 00000000CF0C: 7F3C45B6
	v_rcp_f32_e32 v160, v184                                   // 00000000CF10: 7F4045B8
	v_rcp_f32_e32 v162, v186                                   // 00000000CF14: 7F4445BA
	v_mov_b32_e32 v159, v158                                   // 00000000CF18: 7F3E039E
	v_mov_b32_e32 v161, v160                                   // 00000000CF1C: 7F4203A0
	v_mov_b32_e32 v163, v162                                   // 00000000CF20: 7F4603A2
	v_pk_add_f32 v[124:125], v[124:125], v[100:101]            // 00000000CF24: D3B2407C 1802C97C
	v_pk_add_f32 v[126:127], v[126:127], v[102:103]            // 00000000CF2C: D3B2407E 1802CD7E
	v_pk_add_f32 v[128:129], v[128:129], v[104:105]            // 00000000CF34: D3B24080 1802D180
	v_pk_add_f32 v[130:131], v[130:131], v[106:107]            // 00000000CF3C: D3B24082 1802D582
	v_pk_add_f32 v[132:133], v[132:133], v[108:109]            // 00000000CF44: D3B24084 1802D984
	v_pk_add_f32 v[134:135], v[134:135], v[110:111]            // 00000000CF4C: D3B24086 1802DD86
	v_pk_add_f32 v[136:137], v[136:137], v[112:113]            // 00000000CF54: D3B24088 1802E188
	v_pk_add_f32 v[138:139], v[138:139], v[114:115]            // 00000000CF5C: D3B2408A 1802E58A
	v_pk_add_f32 v[140:141], v[140:141], v[116:117]            // 00000000CF64: D3B2408C 1802E98C
	v_pk_add_f32 v[142:143], v[142:143], v[118:119]            // 00000000CF6C: D3B2408E 1802ED8E
	v_pk_add_f32 v[144:145], v[144:145], v[120:121]            // 00000000CF74: D3B24090 1802F190
	v_pk_add_f32 v[146:147], v[146:147], v[122:123]            // 00000000CF7C: D3B24092 1802F592
	s_waitcnt lgkmcnt(0)                                       // 00000000CF84: BF8CC07F
	s_barrier                                                  // 00000000CF88: BF8A0000
	ds_read_b128 v[4:7], v252 offset:8192                      // 00000000CF8C: D9FE2000 040000FC
	ds_read_b128 v[8:11], v252 offset:9216                     // 00000000CF94: D9FE2400 080000FC
	ds_read_b128 v[12:15], v252 offset:10240                   // 00000000CF9C: D9FE2800 0C0000FC
	ds_read_b128 v[16:19], v252 offset:11264                   // 00000000CFA4: D9FE2C00 100000FC
	ds_read_b128 v[20:23], v252 offset:12288                   // 00000000CFAC: D9FE3000 140000FC
	ds_read_b128 v[24:27], v252 offset:13312                   // 00000000CFB4: D9FE3400 180000FC
	ds_read_b128 v[28:31], v252 offset:14336                   // 00000000CFBC: D9FE3800 1C0000FC
	ds_read_b128 v[32:35], v252 offset:15360                   // 00000000CFC4: D9FE3C00 200000FC
	ds_read_b128 v[36:39], v252 offset:16384                   // 00000000CFCC: D9FE4000 240000FC
	ds_read_b128 v[40:43], v252 offset:17408                   // 00000000CFD4: D9FE4400 280000FC
	ds_read_b128 v[44:47], v252 offset:18432                   // 00000000CFDC: D9FE4800 2C0000FC
	ds_read_b128 v[48:51], v252 offset:19456                   // 00000000CFE4: D9FE4C00 300000FC
	s_waitcnt vmcnt(10)                                        // 00000000CFEC: BF8C0F7A
	v_lshrrev_b32_e32 v211, 4, v0                              // 00000000CFF0: 21A60084
	v_lshlrev_b32_e32 v211, 4, v211                            // 00000000CFF4: 25A7A684
	v_add_u32_e32 v204, s64, v211                              // 00000000CFF8: 6999A640
	v_add_u32_e32 v204, 4, v204                                // 00000000CFFC: 69999884
	v_sub_i32 v204, v204, s62                                  // 00000000D000: D29D00CC 00007DCC
	s_mov_b32 s54, 0                                           // 00000000D008: BEB60080
	v_add_i32 v205, s54, v204                                  // 00000000D00C: D29C00CD 00039836
	v_cmp_lt_i32_e64 vcc, v205, 4                              // 00000000D014: D0C1006A 000109CD
	v_min_u32_e32 v205, 4, v205                                // 00000000D01C: 1D9B9A84
	v_lshlrev_b32_e32 v205, 3, v205                            // 00000000D020: 259B9A83
	v_lshrrev_b32_e64 v206, v205, -1                           // 00000000D024: D11000CE 000183CD
	v_accvgpr_read_b32 v207, a88                               // 00000000D02C: D3D840CF 18000158
	v_cndmask_b32_e32 v207, 0, v207, vcc                       // 00000000D034: 019F9E80
	v_and_b32_e32 v207, v207, v206                             // 00000000D038: 279F9DCF
	v_accvgpr_write_b32 a88, v207                              // 00000000D03C: D3D94058 180001CF
	v_accvgpr_read_b32 v207, a104                              // 00000000D044: D3D840CF 18000168
	v_cndmask_b32_e32 v207, 0, v207, vcc                       // 00000000D04C: 019F9E80
	v_and_b32_e32 v207, v207, v206                             // 00000000D050: 279F9DCF
	v_accvgpr_write_b32 a104, v207                             // 00000000D054: D3D94068 180001CF
	s_mov_b32 s54, 4                                           // 00000000D05C: BEB60084
	v_add_i32 v205, s54, v204                                  // 00000000D060: D29C00CD 00039836
	v_cmp_lt_i32_e64 vcc, v205, 4                              // 00000000D068: D0C1006A 000109CD
	v_min_u32_e32 v205, 4, v205                                // 00000000D070: 1D9B9A84
	v_lshlrev_b32_e32 v205, 3, v205                            // 00000000D074: 259B9A83
	v_lshrrev_b32_e64 v206, v205, -1                           // 00000000D078: D11000CE 000183CD
	v_accvgpr_read_b32 v207, a89                               // 00000000D080: D3D840CF 18000159
	v_cndmask_b32_e32 v207, 0, v207, vcc                       // 00000000D088: 019F9E80
	v_and_b32_e32 v207, v207, v206                             // 00000000D08C: 279F9DCF
	v_accvgpr_write_b32 a89, v207                              // 00000000D090: D3D94059 180001CF
	v_accvgpr_read_b32 v207, a105                              // 00000000D098: D3D840CF 18000169
	v_cndmask_b32_e32 v207, 0, v207, vcc                       // 00000000D0A0: 019F9E80
	v_and_b32_e32 v207, v207, v206                             // 00000000D0A4: 279F9DCF
	v_accvgpr_write_b32 a105, v207                             // 00000000D0A8: D3D94069 180001CF
	s_mov_b32 s54, 8                                           // 00000000D0B0: BEB60088
	v_add_i32 v205, s54, v204                                  // 00000000D0B4: D29C00CD 00039836
	v_cmp_lt_i32_e64 vcc, v205, 4                              // 00000000D0BC: D0C1006A 000109CD
	v_min_u32_e32 v205, 4, v205                                // 00000000D0C4: 1D9B9A84
	v_lshlrev_b32_e32 v205, 3, v205                            // 00000000D0C8: 259B9A83
	v_lshrrev_b32_e64 v206, v205, -1                           // 00000000D0CC: D11000CE 000183CD
	v_accvgpr_read_b32 v207, a90                               // 00000000D0D4: D3D840CF 1800015A
	v_cndmask_b32_e32 v207, 0, v207, vcc                       // 00000000D0DC: 019F9E80
	v_and_b32_e32 v207, v207, v206                             // 00000000D0E0: 279F9DCF
	v_accvgpr_write_b32 a90, v207                              // 00000000D0E4: D3D9405A 180001CF
	v_accvgpr_read_b32 v207, a106                              // 00000000D0EC: D3D840CF 1800016A
	v_cndmask_b32_e32 v207, 0, v207, vcc                       // 00000000D0F4: 019F9E80
	v_and_b32_e32 v207, v207, v206                             // 00000000D0F8: 279F9DCF
	v_accvgpr_write_b32 a106, v207                             // 00000000D0FC: D3D9406A 180001CF
	s_mov_b32 s54, 12                                          // 00000000D104: BEB6008C
	v_add_i32 v205, s54, v204                                  // 00000000D108: D29C00CD 00039836
	v_cmp_lt_i32_e64 vcc, v205, 4                              // 00000000D110: D0C1006A 000109CD
	v_min_u32_e32 v205, 4, v205                                // 00000000D118: 1D9B9A84
	v_lshlrev_b32_e32 v205, 3, v205                            // 00000000D11C: 259B9A83
	v_lshrrev_b32_e64 v206, v205, -1                           // 00000000D120: D11000CE 000183CD
	v_accvgpr_read_b32 v207, a91                               // 00000000D128: D3D840CF 1800015B
	v_cndmask_b32_e32 v207, 0, v207, vcc                       // 00000000D130: 019F9E80
	v_and_b32_e32 v207, v207, v206                             // 00000000D134: 279F9DCF
	v_accvgpr_write_b32 a91, v207                              // 00000000D138: D3D9405B 180001CF
	v_accvgpr_read_b32 v207, a107                              // 00000000D140: D3D840CF 1800016B
	v_cndmask_b32_e32 v207, 0, v207, vcc                       // 00000000D148: 019F9E80
	v_and_b32_e32 v207, v207, v206                             // 00000000D14C: 279F9DCF
	v_accvgpr_write_b32 a107, v207                             // 00000000D150: D3D9406B 180001CF
	s_mov_b32 s54, 64                                          // 00000000D158: BEB600C0
	v_add_i32 v205, s54, v204                                  // 00000000D15C: D29C00CD 00039836
	v_cmp_lt_i32_e64 vcc, v205, 4                              // 00000000D164: D0C1006A 000109CD
	v_min_u32_e32 v205, 4, v205                                // 00000000D16C: 1D9B9A84
	v_lshlrev_b32_e32 v205, 3, v205                            // 00000000D170: 259B9A83
	v_lshrrev_b32_e64 v206, v205, -1                           // 00000000D174: D11000CE 000183CD
	v_accvgpr_read_b32 v207, a92                               // 00000000D17C: D3D840CF 1800015C
	v_cndmask_b32_e32 v207, 0, v207, vcc                       // 00000000D184: 019F9E80
	v_and_b32_e32 v207, v207, v206                             // 00000000D188: 279F9DCF
	v_accvgpr_write_b32 a92, v207                              // 00000000D18C: D3D9405C 180001CF
	v_accvgpr_read_b32 v207, a108                              // 00000000D194: D3D840CF 1800016C
	v_cndmask_b32_e32 v207, 0, v207, vcc                       // 00000000D19C: 019F9E80
	v_and_b32_e32 v207, v207, v206                             // 00000000D1A0: 279F9DCF
	v_accvgpr_write_b32 a108, v207                             // 00000000D1A4: D3D9406C 180001CF
	s_mov_b32 s54, 0x44                                        // 00000000D1AC: BEB600FF 00000044
	v_add_i32 v205, s54, v204                                  // 00000000D1B4: D29C00CD 00039836
	v_cmp_lt_i32_e64 vcc, v205, 4                              // 00000000D1BC: D0C1006A 000109CD
	v_min_u32_e32 v205, 4, v205                                // 00000000D1C4: 1D9B9A84
	v_lshlrev_b32_e32 v205, 3, v205                            // 00000000D1C8: 259B9A83
	v_lshrrev_b32_e64 v206, v205, -1                           // 00000000D1CC: D11000CE 000183CD
	v_accvgpr_read_b32 v207, a93                               // 00000000D1D4: D3D840CF 1800015D
	v_cndmask_b32_e32 v207, 0, v207, vcc                       // 00000000D1DC: 019F9E80
	v_and_b32_e32 v207, v207, v206                             // 00000000D1E0: 279F9DCF
	v_accvgpr_write_b32 a93, v207                              // 00000000D1E4: D3D9405D 180001CF
	v_accvgpr_read_b32 v207, a109                              // 00000000D1EC: D3D840CF 1800016D
	v_cndmask_b32_e32 v207, 0, v207, vcc                       // 00000000D1F4: 019F9E80
	v_and_b32_e32 v207, v207, v206                             // 00000000D1F8: 279F9DCF
	v_accvgpr_write_b32 a109, v207                             // 00000000D1FC: D3D9406D 180001CF
	s_mov_b32 s54, 0x48                                        // 00000000D204: BEB600FF 00000048
	v_add_i32 v205, s54, v204                                  // 00000000D20C: D29C00CD 00039836
	v_cmp_lt_i32_e64 vcc, v205, 4                              // 00000000D214: D0C1006A 000109CD
	v_min_u32_e32 v205, 4, v205                                // 00000000D21C: 1D9B9A84
	v_lshlrev_b32_e32 v205, 3, v205                            // 00000000D220: 259B9A83
	v_lshrrev_b32_e64 v206, v205, -1                           // 00000000D224: D11000CE 000183CD
	v_accvgpr_read_b32 v207, a94                               // 00000000D22C: D3D840CF 1800015E
	v_cndmask_b32_e32 v207, 0, v207, vcc                       // 00000000D234: 019F9E80
	v_and_b32_e32 v207, v207, v206                             // 00000000D238: 279F9DCF
	v_accvgpr_write_b32 a94, v207                              // 00000000D23C: D3D9405E 180001CF
	v_accvgpr_read_b32 v207, a110                              // 00000000D244: D3D840CF 1800016E
	v_cndmask_b32_e32 v207, 0, v207, vcc                       // 00000000D24C: 019F9E80
	v_and_b32_e32 v207, v207, v206                             // 00000000D250: 279F9DCF
	v_accvgpr_write_b32 a110, v207                             // 00000000D254: D3D9406E 180001CF
	s_mov_b32 s54, 0x4c                                        // 00000000D25C: BEB600FF 0000004C
	v_add_i32 v205, s54, v204                                  // 00000000D264: D29C00CD 00039836
	v_cmp_lt_i32_e64 vcc, v205, 4                              // 00000000D26C: D0C1006A 000109CD
	v_min_u32_e32 v205, 4, v205                                // 00000000D274: 1D9B9A84
	v_lshlrev_b32_e32 v205, 3, v205                            // 00000000D278: 259B9A83
	v_lshrrev_b32_e64 v206, v205, -1                           // 00000000D27C: D11000CE 000183CD
	v_accvgpr_read_b32 v207, a95                               // 00000000D284: D3D840CF 1800015F
	v_cndmask_b32_e32 v207, 0, v207, vcc                       // 00000000D28C: 019F9E80
	v_and_b32_e32 v207, v207, v206                             // 00000000D290: 279F9DCF
	v_accvgpr_write_b32 a95, v207                              // 00000000D294: D3D9405F 180001CF
	v_accvgpr_read_b32 v207, a111                              // 00000000D29C: D3D840CF 1800016F
	v_cndmask_b32_e32 v207, 0, v207, vcc                       // 00000000D2A4: 019F9E80
	v_and_b32_e32 v207, v207, v206                             // 00000000D2A8: 279F9DCF
	v_accvgpr_write_b32 a111, v207                             // 00000000D2AC: D3D9406F 180001CF
	s_mov_b32 s54, 0x80                                        // 00000000D2B4: BEB600FF 00000080
	v_add_i32 v205, s54, v204                                  // 00000000D2BC: D29C00CD 00039836
	v_cmp_lt_i32_e64 vcc, v205, 4                              // 00000000D2C4: D0C1006A 000109CD
	v_min_u32_e32 v205, 4, v205                                // 00000000D2CC: 1D9B9A84
	v_lshlrev_b32_e32 v205, 3, v205                            // 00000000D2D0: 259B9A83
	v_lshrrev_b32_e64 v206, v205, -1                           // 00000000D2D4: D11000CE 000183CD
	v_accvgpr_read_b32 v207, a96                               // 00000000D2DC: D3D840CF 18000160
	v_cndmask_b32_e32 v207, 0, v207, vcc                       // 00000000D2E4: 019F9E80
	v_and_b32_e32 v207, v207, v206                             // 00000000D2E8: 279F9DCF
	v_accvgpr_write_b32 a96, v207                              // 00000000D2EC: D3D94060 180001CF
	v_accvgpr_read_b32 v207, a112                              // 00000000D2F4: D3D840CF 18000170
	v_cndmask_b32_e32 v207, 0, v207, vcc                       // 00000000D2FC: 019F9E80
	v_and_b32_e32 v207, v207, v206                             // 00000000D300: 279F9DCF
	v_accvgpr_write_b32 a112, v207                             // 00000000D304: D3D94070 180001CF
	s_mov_b32 s54, 0x84                                        // 00000000D30C: BEB600FF 00000084
	v_add_i32 v205, s54, v204                                  // 00000000D314: D29C00CD 00039836
	v_cmp_lt_i32_e64 vcc, v205, 4                              // 00000000D31C: D0C1006A 000109CD
	v_min_u32_e32 v205, 4, v205                                // 00000000D324: 1D9B9A84
	v_lshlrev_b32_e32 v205, 3, v205                            // 00000000D328: 259B9A83
	v_lshrrev_b32_e64 v206, v205, -1                           // 00000000D32C: D11000CE 000183CD
	v_accvgpr_read_b32 v207, a97                               // 00000000D334: D3D840CF 18000161
	v_cndmask_b32_e32 v207, 0, v207, vcc                       // 00000000D33C: 019F9E80
	v_and_b32_e32 v207, v207, v206                             // 00000000D340: 279F9DCF
	v_accvgpr_write_b32 a97, v207                              // 00000000D344: D3D94061 180001CF
	v_accvgpr_read_b32 v207, a113                              // 00000000D34C: D3D840CF 18000171
	v_cndmask_b32_e32 v207, 0, v207, vcc                       // 00000000D354: 019F9E80
	v_and_b32_e32 v207, v207, v206                             // 00000000D358: 279F9DCF
	v_accvgpr_write_b32 a113, v207                             // 00000000D35C: D3D94071 180001CF
	s_mov_b32 s54, 0x88                                        // 00000000D364: BEB600FF 00000088
	v_add_i32 v205, s54, v204                                  // 00000000D36C: D29C00CD 00039836
	v_cmp_lt_i32_e64 vcc, v205, 4                              // 00000000D374: D0C1006A 000109CD
	v_min_u32_e32 v205, 4, v205                                // 00000000D37C: 1D9B9A84
	v_lshlrev_b32_e32 v205, 3, v205                            // 00000000D380: 259B9A83
	v_lshrrev_b32_e64 v206, v205, -1                           // 00000000D384: D11000CE 000183CD
	v_accvgpr_read_b32 v207, a98                               // 00000000D38C: D3D840CF 18000162
	v_cndmask_b32_e32 v207, 0, v207, vcc                       // 00000000D394: 019F9E80
	v_and_b32_e32 v207, v207, v206                             // 00000000D398: 279F9DCF
	v_accvgpr_write_b32 a98, v207                              // 00000000D39C: D3D94062 180001CF
	v_accvgpr_read_b32 v207, a114                              // 00000000D3A4: D3D840CF 18000172
	v_cndmask_b32_e32 v207, 0, v207, vcc                       // 00000000D3AC: 019F9E80
	v_and_b32_e32 v207, v207, v206                             // 00000000D3B0: 279F9DCF
	v_accvgpr_write_b32 a114, v207                             // 00000000D3B4: D3D94072 180001CF
	s_mov_b32 s54, 0x8c                                        // 00000000D3BC: BEB600FF 0000008C
	v_add_i32 v205, s54, v204                                  // 00000000D3C4: D29C00CD 00039836
	v_cmp_lt_i32_e64 vcc, v205, 4                              // 00000000D3CC: D0C1006A 000109CD
	v_min_u32_e32 v205, 4, v205                                // 00000000D3D4: 1D9B9A84
	v_lshlrev_b32_e32 v205, 3, v205                            // 00000000D3D8: 259B9A83
	v_lshrrev_b32_e64 v206, v205, -1                           // 00000000D3DC: D11000CE 000183CD
	v_accvgpr_read_b32 v207, a99                               // 00000000D3E4: D3D840CF 18000163
	v_cndmask_b32_e32 v207, 0, v207, vcc                       // 00000000D3EC: 019F9E80
	v_and_b32_e32 v207, v207, v206                             // 00000000D3F0: 279F9DCF
	v_accvgpr_write_b32 a99, v207                              // 00000000D3F4: D3D94063 180001CF
	v_accvgpr_read_b32 v207, a115                              // 00000000D3FC: D3D840CF 18000173
	v_cndmask_b32_e32 v207, 0, v207, vcc                       // 00000000D404: 019F9E80
	v_and_b32_e32 v207, v207, v206                             // 00000000D408: 279F9DCF
	v_accvgpr_write_b32 a115, v207                             // 00000000D40C: D3D94073 180001CF
	s_mov_b32 s54, 0xc0                                        // 00000000D414: BEB600FF 000000C0
	v_add_i32 v205, s54, v204                                  // 00000000D41C: D29C00CD 00039836
	v_cmp_lt_i32_e64 vcc, v205, 4                              // 00000000D424: D0C1006A 000109CD
	v_min_u32_e32 v205, 4, v205                                // 00000000D42C: 1D9B9A84
	v_lshlrev_b32_e32 v205, 3, v205                            // 00000000D430: 259B9A83
	v_lshrrev_b32_e64 v206, v205, -1                           // 00000000D434: D11000CE 000183CD
	v_accvgpr_read_b32 v207, a100                              // 00000000D43C: D3D840CF 18000164
	v_cndmask_b32_e32 v207, 0, v207, vcc                       // 00000000D444: 019F9E80
	v_and_b32_e32 v207, v207, v206                             // 00000000D448: 279F9DCF
	v_accvgpr_write_b32 a100, v207                             // 00000000D44C: D3D94064 180001CF
	v_accvgpr_read_b32 v207, a116                              // 00000000D454: D3D840CF 18000174
	v_cndmask_b32_e32 v207, 0, v207, vcc                       // 00000000D45C: 019F9E80
	v_and_b32_e32 v207, v207, v206                             // 00000000D460: 279F9DCF
	v_accvgpr_write_b32 a116, v207                             // 00000000D464: D3D94074 180001CF
	s_mov_b32 s54, 0xc4                                        // 00000000D46C: BEB600FF 000000C4
	v_add_i32 v205, s54, v204                                  // 00000000D474: D29C00CD 00039836
	v_cmp_lt_i32_e64 vcc, v205, 4                              // 00000000D47C: D0C1006A 000109CD
	v_min_u32_e32 v205, 4, v205                                // 00000000D484: 1D9B9A84
	v_lshlrev_b32_e32 v205, 3, v205                            // 00000000D488: 259B9A83
	v_lshrrev_b32_e64 v206, v205, -1                           // 00000000D48C: D11000CE 000183CD
	v_accvgpr_read_b32 v207, a101                              // 00000000D494: D3D840CF 18000165
	v_cndmask_b32_e32 v207, 0, v207, vcc                       // 00000000D49C: 019F9E80
	v_and_b32_e32 v207, v207, v206                             // 00000000D4A0: 279F9DCF
	v_accvgpr_write_b32 a101, v207                             // 00000000D4A4: D3D94065 180001CF
	v_accvgpr_read_b32 v207, a117                              // 00000000D4AC: D3D840CF 18000175
	v_cndmask_b32_e32 v207, 0, v207, vcc                       // 00000000D4B4: 019F9E80
	v_and_b32_e32 v207, v207, v206                             // 00000000D4B8: 279F9DCF
	v_accvgpr_write_b32 a117, v207                             // 00000000D4BC: D3D94075 180001CF
	s_mov_b32 s54, 0xc8                                        // 00000000D4C4: BEB600FF 000000C8
	v_add_i32 v205, s54, v204                                  // 00000000D4CC: D29C00CD 00039836
	v_cmp_lt_i32_e64 vcc, v205, 4                              // 00000000D4D4: D0C1006A 000109CD
	v_min_u32_e32 v205, 4, v205                                // 00000000D4DC: 1D9B9A84
	v_lshlrev_b32_e32 v205, 3, v205                            // 00000000D4E0: 259B9A83
	v_lshrrev_b32_e64 v206, v205, -1                           // 00000000D4E4: D11000CE 000183CD
	v_accvgpr_read_b32 v207, a102                              // 00000000D4EC: D3D840CF 18000166
	v_cndmask_b32_e32 v207, 0, v207, vcc                       // 00000000D4F4: 019F9E80
	v_and_b32_e32 v207, v207, v206                             // 00000000D4F8: 279F9DCF
	v_accvgpr_write_b32 a102, v207                             // 00000000D4FC: D3D94066 180001CF
	v_accvgpr_read_b32 v207, a118                              // 00000000D504: D3D840CF 18000176
	v_cndmask_b32_e32 v207, 0, v207, vcc                       // 00000000D50C: 019F9E80
	v_and_b32_e32 v207, v207, v206                             // 00000000D510: 279F9DCF
	v_accvgpr_write_b32 a118, v207                             // 00000000D514: D3D94076 180001CF
	s_mov_b32 s54, 0xcc                                        // 00000000D51C: BEB600FF 000000CC
	v_add_i32 v205, s54, v204                                  // 00000000D524: D29C00CD 00039836
	v_cmp_lt_i32_e64 vcc, v205, 4                              // 00000000D52C: D0C1006A 000109CD
	v_min_u32_e32 v205, 4, v205                                // 00000000D534: 1D9B9A84
	v_lshlrev_b32_e32 v205, 3, v205                            // 00000000D538: 259B9A83
	v_lshrrev_b32_e64 v206, v205, -1                           // 00000000D53C: D11000CE 000183CD
	v_accvgpr_read_b32 v207, a103                              // 00000000D544: D3D840CF 18000167
	v_cndmask_b32_e32 v207, 0, v207, vcc                       // 00000000D54C: 019F9E80
	v_and_b32_e32 v207, v207, v206                             // 00000000D550: 279F9DCF
	v_accvgpr_write_b32 a103, v207                             // 00000000D554: D3D94067 180001CF
	v_accvgpr_read_b32 v207, a119                              // 00000000D55C: D3D840CF 18000177
	v_cndmask_b32_e32 v207, 0, v207, vcc                       // 00000000D564: 019F9E80
	v_and_b32_e32 v207, v207, v206                             // 00000000D568: 279F9DCF
	v_accvgpr_write_b32 a119, v207                             // 00000000D56C: D3D94077 180001CF
	s_waitcnt lgkmcnt(11)                                      // 00000000D574: BF8CCB7F
	v_mfma_f32_16x16x32_fp8_fp8 v[100:103], a[88:89], v[4:5], 0// 00000000D578: D3F30064 0A020958
	s_lshl_b32 s68, s76, 2                                     // 00000000D580: 8E44824C
	v_mfma_f32_16x16x32_fp8_fp8 v[104:107], a[104:105], v[4:5], 0// 00000000D584: D3F30068 0A020968
	s_cmp_lt_u32 s76, s77                                      // 00000000D58C: BF0A4D4C
	s_cselect_b32 s68, s68, 0                                  // 00000000D590: 85448044
	v_mfma_f32_16x16x32_fp8_fp8 v[100:103], a[90:91], v[6:7], v[100:103]// 00000000D594: D3F30064 0D920D5A
	buffer_load_dwordx4 a[120:123], v231, s[16:19], 0 offen    // 00000000D59C: E05C1000 808478E7
	v_mfma_f32_16x16x32_fp8_fp8 v[104:107], a[106:107], v[6:7], v[104:107]// 00000000D5A4: D3F30068 0DA20D6A
	s_addk_i32 s76, 0x1                                        // 00000000D5AC: B74C0001
	s_waitcnt lgkmcnt(10)                                      // 00000000D5B0: BF8CCA7F
	v_mfma_f32_16x16x32_fp8_fp8 v[100:103], a[92:93], v[8:9], v[100:103]// 00000000D5B4: D3F30064 0D92115C
	v_mfma_f32_16x16x32_fp8_fp8 v[104:107], a[108:109], v[8:9], v[104:107]// 00000000D5BC: D3F30068 0DA2116C
	v_mfma_f32_16x16x32_fp8_fp8 v[100:103], a[94:95], v[10:11], v[100:103]// 00000000D5C4: D3F30064 0D92155E
	buffer_load_dwordx4 a[124:127], v232, s[16:19], 0 offen    // 00000000D5CC: E05C1000 80847CE8
	v_mfma_f32_16x16x32_fp8_fp8 v[104:107], a[110:111], v[10:11], v[104:107]// 00000000D5D4: D3F30068 0DA2156E
	s_waitcnt lgkmcnt(9)                                       // 00000000D5DC: BF8CC97F
	v_mfma_f32_16x16x32_fp8_fp8 v[100:103], a[96:97], v[12:13], v[100:103]// 00000000D5E0: D3F30064 0D921960
	v_mfma_f32_16x16x32_fp8_fp8 v[104:107], a[112:113], v[12:13], v[104:107]// 00000000D5E8: D3F30068 0DA21970
	v_mfma_f32_16x16x32_fp8_fp8 v[100:103], a[98:99], v[14:15], v[100:103]// 00000000D5F0: D3F30064 0D921D62
	buffer_load_dwordx4 a[128:131], v233, s[16:19], 0 offen    // 00000000D5F8: E05C1000 808480E9
	v_mfma_f32_16x16x32_fp8_fp8 v[104:107], a[114:115], v[14:15], v[104:107]// 00000000D600: D3F30068 0DA21D72
	s_waitcnt lgkmcnt(8)                                       // 00000000D608: BF8CC87F
	v_mfma_f32_16x16x32_fp8_fp8 v[100:103], a[100:101], v[16:17], v[100:103]// 00000000D60C: D3F30064 0D922164
	v_mfma_f32_16x16x32_fp8_fp8 v[104:107], a[116:117], v[16:17], v[104:107]// 00000000D614: D3F30068 0DA22174
	v_mfma_f32_16x16x32_fp8_fp8 v[100:103], a[102:103], v[18:19], v[100:103]// 00000000D61C: D3F30064 0D922566
	buffer_load_dwordx4 a[132:135], v234, s[16:19], 0 offen    // 00000000D624: E05C1000 808484EA
	v_mfma_f32_16x16x32_fp8_fp8 v[104:107], a[118:119], v[18:19], v[104:107]// 00000000D62C: D3F30068 0DA22576
	s_waitcnt lgkmcnt(7)                                       // 00000000D634: BF8CC77F
	v_mfma_f32_16x16x32_fp8_fp8 v[108:111], a[88:89], v[20:21], 0// 00000000D638: D3F3006C 0A022958
	v_mfma_f32_16x16x32_fp8_fp8 v[112:115], a[104:105], v[20:21], 0// 00000000D640: D3F30070 0A022968
	v_mfma_f32_16x16x32_fp8_fp8 v[108:111], a[90:91], v[22:23], v[108:111]// 00000000D648: D3F3006C 0DB22D5A
	buffer_load_dwordx4 a[136:139], v231, s[16:19], 0 offen offset:1024// 00000000D650: E05C1400 808488E7
	v_mfma_f32_16x16x32_fp8_fp8 v[112:115], a[106:107], v[22:23], v[112:115]// 00000000D658: D3F30070 0DC22D6A
	s_waitcnt lgkmcnt(6)                                       // 00000000D660: BF8CC67F
	v_mfma_f32_16x16x32_fp8_fp8 v[108:111], a[92:93], v[24:25], v[108:111]// 00000000D664: D3F3006C 0DB2315C
	v_mfma_f32_16x16x32_fp8_fp8 v[112:115], a[108:109], v[24:25], v[112:115]// 00000000D66C: D3F30070 0DC2316C
	v_mfma_f32_16x16x32_fp8_fp8 v[108:111], a[94:95], v[26:27], v[108:111]// 00000000D674: D3F3006C 0DB2355E
	buffer_load_dwordx4 a[140:143], v232, s[16:19], 0 offen offset:1024// 00000000D67C: E05C1400 80848CE8
	v_mfma_f32_16x16x32_fp8_fp8 v[112:115], a[110:111], v[26:27], v[112:115]// 00000000D684: D3F30070 0DC2356E
	s_waitcnt lgkmcnt(5)                                       // 00000000D68C: BF8CC57F
	v_mfma_f32_16x16x32_fp8_fp8 v[108:111], a[96:97], v[28:29], v[108:111]// 00000000D690: D3F3006C 0DB23960
	v_mfma_f32_16x16x32_fp8_fp8 v[112:115], a[112:113], v[28:29], v[112:115]// 00000000D698: D3F30070 0DC23970
	v_mfma_f32_16x16x32_fp8_fp8 v[108:111], a[98:99], v[30:31], v[108:111]// 00000000D6A0: D3F3006C 0DB23D62
	buffer_load_dwordx4 a[144:147], v233, s[16:19], 0 offen offset:1024// 00000000D6A8: E05C1400 808490E9
	v_mfma_f32_16x16x32_fp8_fp8 v[112:115], a[114:115], v[30:31], v[112:115]// 00000000D6B0: D3F30070 0DC23D72
	s_waitcnt lgkmcnt(4)                                       // 00000000D6B8: BF8CC47F
	v_mfma_f32_16x16x32_fp8_fp8 v[108:111], a[100:101], v[32:33], v[108:111]// 00000000D6BC: D3F3006C 0DB24164
	v_mfma_f32_16x16x32_fp8_fp8 v[112:115], a[116:117], v[32:33], v[112:115]// 00000000D6C4: D3F30070 0DC24174
	v_mfma_f32_16x16x32_fp8_fp8 v[108:111], a[102:103], v[34:35], v[108:111]// 00000000D6CC: D3F3006C 0DB24566
	buffer_load_dwordx4 a[148:151], v234, s[16:19], 0 offen offset:1024// 00000000D6D4: E05C1400 808494EA
	v_mfma_f32_16x16x32_fp8_fp8 v[112:115], a[118:119], v[34:35], v[112:115]// 00000000D6DC: D3F30070 0DC24576
	s_waitcnt lgkmcnt(3)                                       // 00000000D6E4: BF8CC37F
	v_mfma_f32_16x16x32_fp8_fp8 v[116:119], a[88:89], v[36:37], 0// 00000000D6E8: D3F30074 0A024958
	v_mfma_f32_16x16x32_fp8_fp8 v[120:123], a[104:105], v[36:37], 0// 00000000D6F0: D3F30078 0A024968
	v_mfma_f32_16x16x32_fp8_fp8 v[116:119], a[90:91], v[38:39], v[116:119]// 00000000D6F8: D3F30074 0DD24D5A
	v_mfma_f32_16x16x32_fp8_fp8 v[120:123], a[106:107], v[38:39], v[120:123]// 00000000D700: D3F30078 0DE24D6A
	s_waitcnt lgkmcnt(2)                                       // 00000000D708: BF8CC27F
	v_mfma_f32_16x16x32_fp8_fp8 v[116:119], a[92:93], v[40:41], v[116:119]// 00000000D70C: D3F30074 0DD2515C
	v_mfma_f32_16x16x32_fp8_fp8 v[120:123], a[108:109], v[40:41], v[120:123]// 00000000D714: D3F30078 0DE2516C
	v_mfma_f32_16x16x32_fp8_fp8 v[116:119], a[94:95], v[42:43], v[116:119]// 00000000D71C: D3F30074 0DD2555E
	v_mfma_f32_16x16x32_fp8_fp8 v[120:123], a[110:111], v[42:43], v[120:123]// 00000000D724: D3F30078 0DE2556E
	s_waitcnt lgkmcnt(1)                                       // 00000000D72C: BF8CC17F
	v_mfma_f32_16x16x32_fp8_fp8 v[116:119], a[96:97], v[44:45], v[116:119]// 00000000D730: D3F30074 0DD25960
	v_mfma_f32_16x16x32_fp8_fp8 v[120:123], a[112:113], v[44:45], v[120:123]// 00000000D738: D3F30078 0DE25970
	v_mfma_f32_16x16x32_fp8_fp8 v[116:119], a[98:99], v[46:47], v[116:119]// 00000000D740: D3F30074 0DD25D62
	v_mfma_f32_16x16x32_fp8_fp8 v[120:123], a[114:115], v[46:47], v[120:123]// 00000000D748: D3F30078 0DE25D72
	s_waitcnt lgkmcnt(0)                                       // 00000000D750: BF8CC07F
	v_mfma_f32_16x16x32_fp8_fp8 v[116:119], a[100:101], v[48:49], v[116:119]// 00000000D754: D3F30074 0DD26164
	v_mfma_f32_16x16x32_fp8_fp8 v[120:123], a[116:117], v[48:49], v[120:123]// 00000000D75C: D3F30078 0DE26174
	v_mfma_f32_16x16x32_fp8_fp8 v[116:119], a[102:103], v[50:51], v[116:119]// 00000000D764: D3F30074 0DD26566
	v_mfma_f32_16x16x32_fp8_fp8 v[120:123], a[118:119], v[50:51], v[120:123]// 00000000D76C: D3F30078 0DE26576
	s_load_dword s59, s[42:43], s68                            // 00000000D774: C0000ED5 00000044
	s_addk_i32 s64, 0x100                                      // 00000000D77C: B7400100

000000000000d780 <label_2C60>:
	s_cmp_lt_i32 s64, s62                                      // 00000000D780: BF043E40
	s_cbranch_scc0 label_421E                                  // 00000000D784: BF8415BC
	s_waitcnt vmcnt(10)                                        // 00000000D788: BF8C0F7A
	v_mfma_f32_16x16x32_fp8_fp8 v[4:7], a[56:57], a[0:1], 0    // 00000000D78C: D3F30004 1A020138
	s_add_u32 s12, s86, s69                                    // 00000000D794: 800C4556
	s_addc_u32 s13, s87, 0                                     // 00000000D798: 820D8057
	v_mfma_f32_16x16x32_fp8_fp8 v[4:7], a[58:59], a[2:3], v[4:7]// 00000000D79C: D3F30004 1C12053A
	s_add_u32 s16, s88, s70                                    // 00000000D7A4: 80104658
	s_addc_u32 s17, s89, 0                                     // 00000000D7A8: 82118059
	v_mfma_f32_16x16x32_fp8_fp8 v[4:7], a[60:61], a[4:5], v[4:7]// 00000000D7AC: D3F30004 1C12093C
	buffer_load_dwordx4 a[24:27], v229, s[12:15], 0 offen      // 00000000D7B4: E05C1000 808318E5
	v_mfma_f32_16x16x32_fp8_fp8 v[4:7], a[62:63], a[6:7], v[4:7]// 00000000D7BC: D3F30004 1C120D3E
	s_add_u32 s20, s90, s71                                    // 00000000D7C4: 8014475A
	s_addc_u32 s21, s91, 0                                     // 00000000D7C8: 8215805B
	v_mfma_f32_16x16x32_fp8_fp8 v[8:11], a[64:65], a[0:1], 0   // 00000000D7CC: D3F30008 1A020140
	s_add_u32 s24, s92, s71                                    // 00000000D7D4: 8018475C
	s_addc_u32 s25, s93, 0                                     // 00000000D7D8: 8219805D
	v_mfma_f32_16x16x32_fp8_fp8 v[8:11], a[66:67], a[2:3], v[8:11]// 00000000D7DC: D3F30008 1C220542
	s_add_u32 s69, s69, 0x1000                                 // 00000000D7E4: 8045FF45 00001000
	s_add_u32 s70, s70, 0x8000                                 // 00000000D7EC: 8046FF46 00008000
	v_mfma_f32_16x16x32_fp8_fp8 v[8:11], a[68:69], a[4:5], v[8:11]// 00000000D7F4: D3F30008 1C220944
	buffer_load_dwordx4 a[28:31], v230, s[12:15], 0 offen      // 00000000D7FC: E05C1000 80831CE6
	v_mfma_f32_16x16x32_fp8_fp8 v[8:11], a[70:71], a[6:7], v[8:11]// 00000000D804: D3F30008 1C220D46
	v_mfma_f32_16x16x32_fp8_fp8 v[12:15], a[72:73], a[0:1], 0  // 00000000D80C: D3F3000C 1A020148
	v_mfma_f32_16x16x32_fp8_fp8 v[12:15], a[74:75], a[2:3], v[12:15]// 00000000D814: D3F3000C 1C32054A
	v_mfma_f32_16x16x32_fp8_fp8 v[12:15], a[76:77], a[4:5], v[12:15]// 00000000D81C: D3F3000C 1C32094C
	buffer_load_dwordx4 a[32:35], v229, s[12:15], 0 offen offset:1024// 00000000D824: E05C1400 808320E5
	v_mfma_f32_16x16x32_fp8_fp8 v[12:15], a[78:79], a[6:7], v[12:15]// 00000000D82C: D3F3000C 1C320D4E
	v_mfma_f32_16x16x32_fp8_fp8 v[16:19], a[80:81], a[0:1], 0  // 00000000D834: D3F30010 1A020150
	v_mfma_f32_16x16x32_fp8_fp8 v[16:19], a[82:83], a[2:3], v[16:19]// 00000000D83C: D3F30010 1C420552
	v_mfma_f32_16x16x32_fp8_fp8 v[16:19], a[84:85], a[4:5], v[16:19]// 00000000D844: D3F30010 1C420954
	buffer_load_dwordx4 a[36:39], v230, s[12:15], 0 offen offset:1024// 00000000D84C: E05C1400 808324E6
	v_mfma_f32_16x16x32_fp8_fp8 v[16:19], a[86:87], a[6:7], v[16:19]// 00000000D854: D3F30010 1C420D56
	v_mfma_f32_16x16x32_fp8_fp8 v[20:23], a[56:57], a[8:9], 0  // 00000000D85C: D3F30014 1A021138
	v_mfma_f32_16x16x32_fp8_fp8 v[20:23], a[58:59], a[10:11], v[20:23]// 00000000D864: D3F30014 1C52153A
	v_mfma_f32_16x16x32_fp8_fp8 v[20:23], a[60:61], a[12:13], v[20:23]// 00000000D86C: D3F30014 1C52193C
	buffer_load_dwordx4 a[40:43], v229, s[12:15], 0 offen offset:2048// 00000000D874: E05C1800 808328E5
	v_mfma_f32_16x16x32_fp8_fp8 v[20:23], a[62:63], a[14:15], v[20:23]// 00000000D87C: D3F30014 1C521D3E
	v_mfma_f32_16x16x32_fp8_fp8 v[24:27], a[64:65], a[8:9], 0  // 00000000D884: D3F30018 1A021140
	v_mfma_f32_16x16x32_fp8_fp8 v[24:27], a[66:67], a[10:11], v[24:27]// 00000000D88C: D3F30018 1C621542
	v_mfma_f32_16x16x32_fp8_fp8 v[24:27], a[68:69], a[12:13], v[24:27]// 00000000D894: D3F30018 1C621944
	buffer_load_dwordx4 a[44:47], v230, s[12:15], 0 offen offset:2048// 00000000D89C: E05C1800 80832CE6
	v_mfma_f32_16x16x32_fp8_fp8 v[24:27], a[70:71], a[14:15], v[24:27]// 00000000D8A4: D3F30018 1C621D46
	v_mfma_f32_16x16x32_fp8_fp8 v[28:31], a[72:73], a[8:9], 0  // 00000000D8AC: D3F3001C 1A021148
	v_mfma_f32_16x16x32_fp8_fp8 v[28:31], a[74:75], a[10:11], v[28:31]// 00000000D8B4: D3F3001C 1C72154A
	v_mfma_f32_16x16x32_fp8_fp8 v[28:31], a[76:77], a[12:13], v[28:31]// 00000000D8BC: D3F3001C 1C72194C
	buffer_load_dwordx4 a[48:51], v229, s[12:15], 0 offen offset:3072// 00000000D8C4: E05C1C00 808330E5
	v_mfma_f32_16x16x32_fp8_fp8 v[28:31], a[78:79], a[14:15], v[28:31]// 00000000D8CC: D3F3001C 1C721D4E
	v_mfma_f32_16x16x32_fp8_fp8 v[32:35], a[80:81], a[8:9], 0  // 00000000D8D4: D3F30020 1A021150
	v_mfma_f32_16x16x32_fp8_fp8 v[32:35], a[82:83], a[10:11], v[32:35]// 00000000D8DC: D3F30020 1C821552
	v_mfma_f32_16x16x32_fp8_fp8 v[32:35], a[84:85], a[12:13], v[32:35]// 00000000D8E4: D3F30020 1C821954
	buffer_load_dwordx4 a[52:55], v230, s[12:15], 0 offen offset:3072// 00000000D8EC: E05C1C00 808334E6
	v_mfma_f32_16x16x32_fp8_fp8 v[32:35], a[86:87], a[14:15], v[32:35]// 00000000D8F4: D3F30020 1C821D56
	v_mfma_f32_16x16x32_fp8_fp8 v[36:39], a[56:57], a[16:17], 0// 00000000D8FC: D3F30024 1A022138
	v_mfma_f32_16x16x32_fp8_fp8 v[36:39], a[58:59], a[18:19], v[36:39]// 00000000D904: D3F30024 1C92253A
	v_mfma_f32_16x16x32_fp8_fp8 v[36:39], a[60:61], a[20:21], v[36:39]// 00000000D90C: D3F30024 1C92293C
	v_mfma_f32_16x16x32_fp8_fp8 v[36:39], a[62:63], a[22:23], v[36:39]// 00000000D914: D3F30024 1C922D3E
	v_mfma_f32_16x16x32_fp8_fp8 v[40:43], a[64:65], a[16:17], 0// 00000000D91C: D3F30028 1A022140
	v_mfma_f32_16x16x32_fp8_fp8 v[40:43], a[66:67], a[18:19], v[40:43]// 00000000D924: D3F30028 1CA22542
	v_mfma_f32_16x16x32_fp8_fp8 v[40:43], a[68:69], a[20:21], v[40:43]// 00000000D92C: D3F30028 1CA22944
	v_mfma_f32_16x16x32_fp8_fp8 v[40:43], a[70:71], a[22:23], v[40:43]// 00000000D934: D3F30028 1CA22D46
	v_mfma_f32_16x16x32_fp8_fp8 v[44:47], a[72:73], a[16:17], 0// 00000000D93C: D3F3002C 1A022148
	v_mfma_f32_16x16x32_fp8_fp8 v[44:47], a[74:75], a[18:19], v[44:47]// 00000000D944: D3F3002C 1CB2254A
	v_mfma_f32_16x16x32_fp8_fp8 v[44:47], a[76:77], a[20:21], v[44:47]// 00000000D94C: D3F3002C 1CB2294C
	v_mfma_f32_16x16x32_fp8_fp8 v[44:47], a[78:79], a[22:23], v[44:47]// 00000000D954: D3F3002C 1CB22D4E
	v_mfma_f32_16x16x32_fp8_fp8 v[48:51], a[80:81], a[16:17], 0// 00000000D95C: D3F30030 1A022150
	v_mfma_f32_16x16x32_fp8_fp8 v[48:51], a[82:83], a[18:19], v[48:51]// 00000000D964: D3F30030 1CC22552
	v_mfma_f32_16x16x32_fp8_fp8 v[48:51], a[84:85], a[20:21], v[48:51]// 00000000D96C: D3F30030 1CC22954
	v_mfma_f32_16x16x32_fp8_fp8 v[48:51], a[86:87], a[22:23], v[48:51]// 00000000D974: D3F30030 1CC22D56
	s_waitcnt vmcnt(16)                                        // 00000000D97C: BF8C4F70
	v_pk_mul_f32 v[4:5], v[148:149], v[4:5]                    // 00000000D980: D3B14004 18020994
	v_pk_mul_f32 v[6:7], v[148:149], v[6:7]                    // 00000000D988: D3B14006 18020D94
	v_mul_f32_dpp v4, v155, v4 row_newbcast:0 row_mask:0xf bank_mask:0xf// 00000000D990: 0A0808FA FF01509B
	v_mul_f32_dpp v5, v155, v5 row_newbcast:1 row_mask:0xf bank_mask:0xf// 00000000D998: 0A0A0AFA FF01519B
	v_mul_f32_dpp v6, v155, v6 row_newbcast:2 row_mask:0xf bank_mask:0xf// 00000000D9A0: 0A0C0CFA FF01529B
	v_mul_f32_dpp v7, v155, v7 row_newbcast:3 row_mask:0xf bank_mask:0xf// 00000000D9A8: 0A0E0EFA FF01539B
	v_pk_mul_f32 v[8:9], v[148:149], v[8:9]                    // 00000000D9B0: D3B14008 18021194
	v_pk_mul_f32 v[10:11], v[148:149], v[10:11]                // 00000000D9B8: D3B1400A 18021594
	v_mul_f32_dpp v8, v155, v8 row_newbcast:4 row_mask:0xf bank_mask:0xf// 00000000D9C0: 0A1010FA FF01549B
	v_mul_f32_dpp v9, v155, v9 row_newbcast:5 row_mask:0xf bank_mask:0xf// 00000000D9C8: 0A1212FA FF01559B
	v_mul_f32_dpp v10, v155, v10 row_newbcast:6 row_mask:0xf bank_mask:0xf// 00000000D9D0: 0A1414FA FF01569B
	v_mul_f32_dpp v11, v155, v11 row_newbcast:7 row_mask:0xf bank_mask:0xf// 00000000D9D8: 0A1616FA FF01579B
	v_pk_mul_f32 v[12:13], v[148:149], v[12:13]                // 00000000D9E0: D3B1400C 18021994
	v_pk_mul_f32 v[14:15], v[148:149], v[14:15]                // 00000000D9E8: D3B1400E 18021D94
	v_mul_f32_dpp v12, v155, v12 row_newbcast:8 row_mask:0xf bank_mask:0xf// 00000000D9F0: 0A1818FA FF01589B
	v_mul_f32_dpp v13, v155, v13 row_newbcast:9 row_mask:0xf bank_mask:0xf// 00000000D9F8: 0A1A1AFA FF01599B
	v_mul_f32_dpp v14, v155, v14 row_newbcast:10 row_mask:0xf bank_mask:0xf// 00000000DA00: 0A1C1CFA FF015A9B
	v_mul_f32_dpp v15, v155, v15 row_newbcast:11 row_mask:0xf bank_mask:0xf// 00000000DA08: 0A1E1EFA FF015B9B
	v_pk_mul_f32 v[16:17], v[148:149], v[16:17]                // 00000000DA10: D3B14010 18022194
	v_pk_mul_f32 v[18:19], v[148:149], v[18:19]                // 00000000DA18: D3B14012 18022594
	v_mul_f32_dpp v16, v155, v16 row_newbcast:12 row_mask:0xf bank_mask:0xf// 00000000DA20: 0A2020FA FF015C9B
	v_mul_f32_dpp v17, v155, v17 row_newbcast:13 row_mask:0xf bank_mask:0xf// 00000000DA28: 0A2222FA FF015D9B
	v_mul_f32_dpp v18, v155, v18 row_newbcast:14 row_mask:0xf bank_mask:0xf// 00000000DA30: 0A2424FA FF015E9B
	v_mul_f32_dpp v19, v155, v19 row_newbcast:15 row_mask:0xf bank_mask:0xf// 00000000DA38: 0A2626FA FF015F9B
	v_pk_mul_f32 v[20:21], v[150:151], v[20:21]                // 00000000DA40: D3B14014 18022996
	v_pk_mul_f32 v[22:23], v[150:151], v[22:23]                // 00000000DA48: D3B14016 18022D96
	v_mul_f32_dpp v20, v155, v20 row_newbcast:0 row_mask:0xf bank_mask:0xf// 00000000DA50: 0A2828FA FF01509B
	v_mul_f32_dpp v21, v155, v21 row_newbcast:1 row_mask:0xf bank_mask:0xf// 00000000DA58: 0A2A2AFA FF01519B
	v_mul_f32_dpp v22, v155, v22 row_newbcast:2 row_mask:0xf bank_mask:0xf// 00000000DA60: 0A2C2CFA FF01529B
	v_mul_f32_dpp v23, v155, v23 row_newbcast:3 row_mask:0xf bank_mask:0xf// 00000000DA68: 0A2E2EFA FF01539B
	v_pk_mul_f32 v[24:25], v[150:151], v[24:25]                // 00000000DA70: D3B14018 18023196
	v_pk_mul_f32 v[26:27], v[150:151], v[26:27]                // 00000000DA78: D3B1401A 18023596
	v_mul_f32_dpp v24, v155, v24 row_newbcast:4 row_mask:0xf bank_mask:0xf// 00000000DA80: 0A3030FA FF01549B
	v_mul_f32_dpp v25, v155, v25 row_newbcast:5 row_mask:0xf bank_mask:0xf// 00000000DA88: 0A3232FA FF01559B
	v_mul_f32_dpp v26, v155, v26 row_newbcast:6 row_mask:0xf bank_mask:0xf// 00000000DA90: 0A3434FA FF01569B
	v_mul_f32_dpp v27, v155, v27 row_newbcast:7 row_mask:0xf bank_mask:0xf// 00000000DA98: 0A3636FA FF01579B
	v_pk_mul_f32 v[28:29], v[150:151], v[28:29]                // 00000000DAA0: D3B1401C 18023996
	v_pk_mul_f32 v[30:31], v[150:151], v[30:31]                // 00000000DAA8: D3B1401E 18023D96
	v_mul_f32_dpp v28, v155, v28 row_newbcast:8 row_mask:0xf bank_mask:0xf// 00000000DAB0: 0A3838FA FF01589B
	v_mul_f32_dpp v29, v155, v29 row_newbcast:9 row_mask:0xf bank_mask:0xf// 00000000DAB8: 0A3A3AFA FF01599B
	v_mul_f32_dpp v30, v155, v30 row_newbcast:10 row_mask:0xf bank_mask:0xf// 00000000DAC0: 0A3C3CFA FF015A9B
	v_mul_f32_dpp v31, v155, v31 row_newbcast:11 row_mask:0xf bank_mask:0xf// 00000000DAC8: 0A3E3EFA FF015B9B
	v_pk_mul_f32 v[32:33], v[150:151], v[32:33]                // 00000000DAD0: D3B14020 18024196
	v_pk_mul_f32 v[34:35], v[150:151], v[34:35]                // 00000000DAD8: D3B14022 18024596
	v_mul_f32_dpp v32, v155, v32 row_newbcast:12 row_mask:0xf bank_mask:0xf// 00000000DAE0: 0A4040FA FF015C9B
	v_mul_f32_dpp v33, v155, v33 row_newbcast:13 row_mask:0xf bank_mask:0xf// 00000000DAE8: 0A4242FA FF015D9B
	v_mul_f32_dpp v34, v155, v34 row_newbcast:14 row_mask:0xf bank_mask:0xf// 00000000DAF0: 0A4444FA FF015E9B
	v_mul_f32_dpp v35, v155, v35 row_newbcast:15 row_mask:0xf bank_mask:0xf// 00000000DAF8: 0A4646FA FF015F9B
	v_pk_mul_f32 v[36:37], v[152:153], v[36:37]                // 00000000DB00: D3B14024 18024998
	v_pk_mul_f32 v[38:39], v[152:153], v[38:39]                // 00000000DB08: D3B14026 18024D98
	v_mul_f32_dpp v36, v155, v36 row_newbcast:0 row_mask:0xf bank_mask:0xf// 00000000DB10: 0A4848FA FF01509B
	v_mul_f32_dpp v37, v155, v37 row_newbcast:1 row_mask:0xf bank_mask:0xf// 00000000DB18: 0A4A4AFA FF01519B
	v_mul_f32_dpp v38, v155, v38 row_newbcast:2 row_mask:0xf bank_mask:0xf// 00000000DB20: 0A4C4CFA FF01529B
	v_mul_f32_dpp v39, v155, v39 row_newbcast:3 row_mask:0xf bank_mask:0xf// 00000000DB28: 0A4E4EFA FF01539B
	v_pk_mul_f32 v[40:41], v[152:153], v[40:41]                // 00000000DB30: D3B14028 18025198
	v_pk_mul_f32 v[42:43], v[152:153], v[42:43]                // 00000000DB38: D3B1402A 18025598
	v_mul_f32_dpp v40, v155, v40 row_newbcast:4 row_mask:0xf bank_mask:0xf// 00000000DB40: 0A5050FA FF01549B
	v_mul_f32_dpp v41, v155, v41 row_newbcast:5 row_mask:0xf bank_mask:0xf// 00000000DB48: 0A5252FA FF01559B
	v_mul_f32_dpp v42, v155, v42 row_newbcast:6 row_mask:0xf bank_mask:0xf// 00000000DB50: 0A5454FA FF01569B
	v_mul_f32_dpp v43, v155, v43 row_newbcast:7 row_mask:0xf bank_mask:0xf// 00000000DB58: 0A5656FA FF01579B
	v_pk_mul_f32 v[44:45], v[152:153], v[44:45]                // 00000000DB60: D3B1402C 18025998
	v_pk_mul_f32 v[46:47], v[152:153], v[46:47]                // 00000000DB68: D3B1402E 18025D98
	v_mul_f32_dpp v44, v155, v44 row_newbcast:8 row_mask:0xf bank_mask:0xf// 00000000DB70: 0A5858FA FF01589B
	v_mul_f32_dpp v45, v155, v45 row_newbcast:9 row_mask:0xf bank_mask:0xf// 00000000DB78: 0A5A5AFA FF01599B
	v_mul_f32_dpp v46, v155, v46 row_newbcast:10 row_mask:0xf bank_mask:0xf// 00000000DB80: 0A5C5CFA FF015A9B
	v_mul_f32_dpp v47, v155, v47 row_newbcast:11 row_mask:0xf bank_mask:0xf// 00000000DB88: 0A5E5EFA FF015B9B
	v_pk_mul_f32 v[48:49], v[152:153], v[48:49]                // 00000000DB90: D3B14030 18026198
	v_pk_mul_f32 v[50:51], v[152:153], v[50:51]                // 00000000DB98: D3B14032 18026598
	v_mul_f32_dpp v48, v155, v48 row_newbcast:12 row_mask:0xf bank_mask:0xf// 00000000DBA0: 0A6060FA FF015C9B
	v_mul_f32_dpp v49, v155, v49 row_newbcast:13 row_mask:0xf bank_mask:0xf// 00000000DBA8: 0A6262FA FF015D9B
	v_mul_f32_dpp v50, v155, v50 row_newbcast:14 row_mask:0xf bank_mask:0xf// 00000000DBB0: 0A6464FA FF015E9B
	v_mul_f32_dpp v51, v155, v51 row_newbcast:15 row_mask:0xf bank_mask:0xf// 00000000DBB8: 0A6666FA FF015F9B
	v_add_u32_e32 v204, s64, v221                              // 00000000DBC0: 6999BA40
	v_add_u32_e32 v205, 0, v204                                // 00000000DBC4: 699B9880
	v_cmp_lt_u32_e64 s[98:99], v205, v218                      // 00000000DBC8: D0C90062 0003B5CD
	s_nop 0                                                    // 00000000DBD0: BF800000
	v_cndmask_b32_e64 v4, v222, v4, s[98:99]                   // 00000000DBD4: D1000004 018A09DE
	v_add_u32_e32 v205, 1, v204                                // 00000000DBDC: 699B9881
	v_cmp_lt_u32_e64 s[98:99], v205, v218                      // 00000000DBE0: D0C90062 0003B5CD
	s_nop 0                                                    // 00000000DBE8: BF800000
	v_cndmask_b32_e64 v5, v222, v5, s[98:99]                   // 00000000DBEC: D1000005 018A0BDE
	v_add_u32_e32 v205, 2, v204                                // 00000000DBF4: 699B9882
	v_cmp_lt_u32_e64 s[98:99], v205, v218                      // 00000000DBF8: D0C90062 0003B5CD
	s_nop 0                                                    // 00000000DC00: BF800000
	v_cndmask_b32_e64 v6, v222, v6, s[98:99]                   // 00000000DC04: D1000006 018A0DDE
	v_add_u32_e32 v205, 3, v204                                // 00000000DC0C: 699B9883
	v_cmp_lt_u32_e64 s[98:99], v205, v218                      // 00000000DC10: D0C90062 0003B5CD
	s_nop 0                                                    // 00000000DC18: BF800000
	v_cndmask_b32_e64 v7, v222, v7, s[98:99]                   // 00000000DC1C: D1000007 018A0FDE
	v_add_u32_e32 v205, 64, v204                               // 00000000DC24: 699B98C0
	v_cmp_lt_u32_e64 s[98:99], v205, v218                      // 00000000DC28: D0C90062 0003B5CD
	s_nop 0                                                    // 00000000DC30: BF800000
	v_cndmask_b32_e64 v8, v222, v8, s[98:99]                   // 00000000DC34: D1000008 018A11DE
	v_add_u32_e32 v205, 0x41, v204                             // 00000000DC3C: 699B98FF 00000041
	v_cmp_lt_u32_e64 s[98:99], v205, v218                      // 00000000DC44: D0C90062 0003B5CD
	s_nop 0                                                    // 00000000DC4C: BF800000
	v_cndmask_b32_e64 v9, v222, v9, s[98:99]                   // 00000000DC50: D1000009 018A13DE
	v_add_u32_e32 v205, 0x42, v204                             // 00000000DC58: 699B98FF 00000042
	v_cmp_lt_u32_e64 s[98:99], v205, v218                      // 00000000DC60: D0C90062 0003B5CD
	s_nop 0                                                    // 00000000DC68: BF800000
	v_cndmask_b32_e64 v10, v222, v10, s[98:99]                 // 00000000DC6C: D100000A 018A15DE
	v_add_u32_e32 v205, 0x43, v204                             // 00000000DC74: 699B98FF 00000043
	v_cmp_lt_u32_e64 s[98:99], v205, v218                      // 00000000DC7C: D0C90062 0003B5CD
	s_nop 0                                                    // 00000000DC84: BF800000
	v_cndmask_b32_e64 v11, v222, v11, s[98:99]                 // 00000000DC88: D100000B 018A17DE
	v_add_u32_e32 v205, 0x80, v204                             // 00000000DC90: 699B98FF 00000080
	v_cmp_lt_u32_e64 s[98:99], v205, v218                      // 00000000DC98: D0C90062 0003B5CD
	s_nop 0                                                    // 00000000DCA0: BF800000
	v_cndmask_b32_e64 v12, v222, v12, s[98:99]                 // 00000000DCA4: D100000C 018A19DE
	v_add_u32_e32 v205, 0x81, v204                             // 00000000DCAC: 699B98FF 00000081
	v_cmp_lt_u32_e64 s[98:99], v205, v218                      // 00000000DCB4: D0C90062 0003B5CD
	s_nop 0                                                    // 00000000DCBC: BF800000
	v_cndmask_b32_e64 v13, v222, v13, s[98:99]                 // 00000000DCC0: D100000D 018A1BDE
	v_add_u32_e32 v205, 0x82, v204                             // 00000000DCC8: 699B98FF 00000082
	v_cmp_lt_u32_e64 s[98:99], v205, v218                      // 00000000DCD0: D0C90062 0003B5CD
	s_nop 0                                                    // 00000000DCD8: BF800000
	v_cndmask_b32_e64 v14, v222, v14, s[98:99]                 // 00000000DCDC: D100000E 018A1DDE
	v_add_u32_e32 v205, 0x83, v204                             // 00000000DCE4: 699B98FF 00000083
	v_cmp_lt_u32_e64 s[98:99], v205, v218                      // 00000000DCEC: D0C90062 0003B5CD
	s_nop 0                                                    // 00000000DCF4: BF800000
	v_cndmask_b32_e64 v15, v222, v15, s[98:99]                 // 00000000DCF8: D100000F 018A1FDE
	v_add_u32_e32 v205, 0xc0, v204                             // 00000000DD00: 699B98FF 000000C0
	v_cmp_lt_u32_e64 s[98:99], v205, v218                      // 00000000DD08: D0C90062 0003B5CD
	s_nop 0                                                    // 00000000DD10: BF800000
	v_cndmask_b32_e64 v16, v222, v16, s[98:99]                 // 00000000DD14: D1000010 018A21DE
	v_add_u32_e32 v205, 0xc1, v204                             // 00000000DD1C: 699B98FF 000000C1
	v_cmp_lt_u32_e64 s[98:99], v205, v218                      // 00000000DD24: D0C90062 0003B5CD
	s_nop 0                                                    // 00000000DD2C: BF800000
	v_cndmask_b32_e64 v17, v222, v17, s[98:99]                 // 00000000DD30: D1000011 018A23DE
	v_add_u32_e32 v205, 0xc2, v204                             // 00000000DD38: 699B98FF 000000C2
	v_cmp_lt_u32_e64 s[98:99], v205, v218                      // 00000000DD40: D0C90062 0003B5CD
	s_nop 0                                                    // 00000000DD48: BF800000
	v_cndmask_b32_e64 v18, v222, v18, s[98:99]                 // 00000000DD4C: D1000012 018A25DE
	v_add_u32_e32 v205, 0xc3, v204                             // 00000000DD54: 699B98FF 000000C3
	v_cmp_lt_u32_e64 s[98:99], v205, v218                      // 00000000DD5C: D0C90062 0003B5CD
	s_nop 0                                                    // 00000000DD64: BF800000
	v_cndmask_b32_e64 v19, v222, v19, s[98:99]                 // 00000000DD68: D1000013 018A27DE
	v_add_u32_e32 v205, 0, v204                                // 00000000DD70: 699B9880
	v_cmp_lt_u32_e64 s[98:99], v205, v219                      // 00000000DD74: D0C90062 0003B7CD
	s_nop 0                                                    // 00000000DD7C: BF800000
	v_cndmask_b32_e64 v20, v222, v20, s[98:99]                 // 00000000DD80: D1000014 018A29DE
	v_add_u32_e32 v205, 1, v204                                // 00000000DD88: 699B9881
	v_cmp_lt_u32_e64 s[98:99], v205, v219                      // 00000000DD8C: D0C90062 0003B7CD
	s_nop 0                                                    // 00000000DD94: BF800000
	v_cndmask_b32_e64 v21, v222, v21, s[98:99]                 // 00000000DD98: D1000015 018A2BDE
	v_add_u32_e32 v205, 2, v204                                // 00000000DDA0: 699B9882
	v_cmp_lt_u32_e64 s[98:99], v205, v219                      // 00000000DDA4: D0C90062 0003B7CD
	s_nop 0                                                    // 00000000DDAC: BF800000
	v_cndmask_b32_e64 v22, v222, v22, s[98:99]                 // 00000000DDB0: D1000016 018A2DDE
	v_add_u32_e32 v205, 3, v204                                // 00000000DDB8: 699B9883
	v_cmp_lt_u32_e64 s[98:99], v205, v219                      // 00000000DDBC: D0C90062 0003B7CD
	s_nop 0                                                    // 00000000DDC4: BF800000
	v_cndmask_b32_e64 v23, v222, v23, s[98:99]                 // 00000000DDC8: D1000017 018A2FDE
	v_add_u32_e32 v205, 64, v204                               // 00000000DDD0: 699B98C0
	v_cmp_lt_u32_e64 s[98:99], v205, v219                      // 00000000DDD4: D0C90062 0003B7CD
	s_nop 0                                                    // 00000000DDDC: BF800000
	v_cndmask_b32_e64 v24, v222, v24, s[98:99]                 // 00000000DDE0: D1000018 018A31DE
	v_add_u32_e32 v205, 0x41, v204                             // 00000000DDE8: 699B98FF 00000041
	v_cmp_lt_u32_e64 s[98:99], v205, v219                      // 00000000DDF0: D0C90062 0003B7CD
	s_nop 0                                                    // 00000000DDF8: BF800000
	v_cndmask_b32_e64 v25, v222, v25, s[98:99]                 // 00000000DDFC: D1000019 018A33DE
	v_add_u32_e32 v205, 0x42, v204                             // 00000000DE04: 699B98FF 00000042
	v_cmp_lt_u32_e64 s[98:99], v205, v219                      // 00000000DE0C: D0C90062 0003B7CD
	s_nop 0                                                    // 00000000DE14: BF800000
	v_cndmask_b32_e64 v26, v222, v26, s[98:99]                 // 00000000DE18: D100001A 018A35DE
	v_add_u32_e32 v205, 0x43, v204                             // 00000000DE20: 699B98FF 00000043
	v_cmp_lt_u32_e64 s[98:99], v205, v219                      // 00000000DE28: D0C90062 0003B7CD
	s_nop 0                                                    // 00000000DE30: BF800000
	v_cndmask_b32_e64 v27, v222, v27, s[98:99]                 // 00000000DE34: D100001B 018A37DE
	v_add_u32_e32 v205, 0x80, v204                             // 00000000DE3C: 699B98FF 00000080
	v_cmp_lt_u32_e64 s[98:99], v205, v219                      // 00000000DE44: D0C90062 0003B7CD
	s_nop 0                                                    // 00000000DE4C: BF800000
	v_cndmask_b32_e64 v28, v222, v28, s[98:99]                 // 00000000DE50: D100001C 018A39DE
	v_add_u32_e32 v205, 0x81, v204                             // 00000000DE58: 699B98FF 00000081
	v_cmp_lt_u32_e64 s[98:99], v205, v219                      // 00000000DE60: D0C90062 0003B7CD
	s_nop 0                                                    // 00000000DE68: BF800000
	v_cndmask_b32_e64 v29, v222, v29, s[98:99]                 // 00000000DE6C: D100001D 018A3BDE
	v_add_u32_e32 v205, 0x82, v204                             // 00000000DE74: 699B98FF 00000082
	v_cmp_lt_u32_e64 s[98:99], v205, v219                      // 00000000DE7C: D0C90062 0003B7CD
	s_nop 0                                                    // 00000000DE84: BF800000
	v_cndmask_b32_e64 v30, v222, v30, s[98:99]                 // 00000000DE88: D100001E 018A3DDE
	v_add_u32_e32 v205, 0x83, v204                             // 00000000DE90: 699B98FF 00000083
	v_cmp_lt_u32_e64 s[98:99], v205, v219                      // 00000000DE98: D0C90062 0003B7CD
	s_nop 0                                                    // 00000000DEA0: BF800000
	v_cndmask_b32_e64 v31, v222, v31, s[98:99]                 // 00000000DEA4: D100001F 018A3FDE
	v_add_u32_e32 v205, 0xc0, v204                             // 00000000DEAC: 699B98FF 000000C0
	v_cmp_lt_u32_e64 s[98:99], v205, v219                      // 00000000DEB4: D0C90062 0003B7CD
	s_nop 0                                                    // 00000000DEBC: BF800000
	v_cndmask_b32_e64 v32, v222, v32, s[98:99]                 // 00000000DEC0: D1000020 018A41DE
	v_add_u32_e32 v205, 0xc1, v204                             // 00000000DEC8: 699B98FF 000000C1
	v_cmp_lt_u32_e64 s[98:99], v205, v219                      // 00000000DED0: D0C90062 0003B7CD
	s_nop 0                                                    // 00000000DED8: BF800000
	v_cndmask_b32_e64 v33, v222, v33, s[98:99]                 // 00000000DEDC: D1000021 018A43DE
	v_add_u32_e32 v205, 0xc2, v204                             // 00000000DEE4: 699B98FF 000000C2
	v_cmp_lt_u32_e64 s[98:99], v205, v219                      // 00000000DEEC: D0C90062 0003B7CD
	s_nop 0                                                    // 00000000DEF4: BF800000
	v_cndmask_b32_e64 v34, v222, v34, s[98:99]                 // 00000000DEF8: D1000022 018A45DE
	v_add_u32_e32 v205, 0xc3, v204                             // 00000000DF00: 699B98FF 000000C3
	v_cmp_lt_u32_e64 s[98:99], v205, v219                      // 00000000DF08: D0C90062 0003B7CD
	s_nop 0                                                    // 00000000DF10: BF800000
	v_cndmask_b32_e64 v35, v222, v35, s[98:99]                 // 00000000DF14: D1000023 018A47DE
	v_add_u32_e32 v205, 0, v204                                // 00000000DF1C: 699B9880
	v_cmp_lt_u32_e64 s[98:99], v205, v220                      // 00000000DF20: D0C90062 0003B9CD
	s_nop 0                                                    // 00000000DF28: BF800000
	v_cndmask_b32_e64 v36, v222, v36, s[98:99]                 // 00000000DF2C: D1000024 018A49DE
	v_add_u32_e32 v205, 1, v204                                // 00000000DF34: 699B9881
	v_cmp_lt_u32_e64 s[98:99], v205, v220                      // 00000000DF38: D0C90062 0003B9CD
	s_nop 0                                                    // 00000000DF40: BF800000
	v_cndmask_b32_e64 v37, v222, v37, s[98:99]                 // 00000000DF44: D1000025 018A4BDE
	v_add_u32_e32 v205, 2, v204                                // 00000000DF4C: 699B9882
	v_cmp_lt_u32_e64 s[98:99], v205, v220                      // 00000000DF50: D0C90062 0003B9CD
	s_nop 0                                                    // 00000000DF58: BF800000
	v_cndmask_b32_e64 v38, v222, v38, s[98:99]                 // 00000000DF5C: D1000026 018A4DDE
	v_add_u32_e32 v205, 3, v204                                // 00000000DF64: 699B9883
	v_cmp_lt_u32_e64 s[98:99], v205, v220                      // 00000000DF68: D0C90062 0003B9CD
	s_nop 0                                                    // 00000000DF70: BF800000
	v_cndmask_b32_e64 v39, v222, v39, s[98:99]                 // 00000000DF74: D1000027 018A4FDE
	v_add_u32_e32 v205, 64, v204                               // 00000000DF7C: 699B98C0
	v_cmp_lt_u32_e64 s[98:99], v205, v220                      // 00000000DF80: D0C90062 0003B9CD
	s_nop 0                                                    // 00000000DF88: BF800000
	v_cndmask_b32_e64 v40, v222, v40, s[98:99]                 // 00000000DF8C: D1000028 018A51DE
	v_add_u32_e32 v205, 0x41, v204                             // 00000000DF94: 699B98FF 00000041
	v_cmp_lt_u32_e64 s[98:99], v205, v220                      // 00000000DF9C: D0C90062 0003B9CD
	s_nop 0                                                    // 00000000DFA4: BF800000
	v_cndmask_b32_e64 v41, v222, v41, s[98:99]                 // 00000000DFA8: D1000029 018A53DE
	v_add_u32_e32 v205, 0x42, v204                             // 00000000DFB0: 699B98FF 00000042
	v_cmp_lt_u32_e64 s[98:99], v205, v220                      // 00000000DFB8: D0C90062 0003B9CD
	s_nop 0                                                    // 00000000DFC0: BF800000
	v_cndmask_b32_e64 v42, v222, v42, s[98:99]                 // 00000000DFC4: D100002A 018A55DE
	v_add_u32_e32 v205, 0x43, v204                             // 00000000DFCC: 699B98FF 00000043
	v_cmp_lt_u32_e64 s[98:99], v205, v220                      // 00000000DFD4: D0C90062 0003B9CD
	s_nop 0                                                    // 00000000DFDC: BF800000
	v_cndmask_b32_e64 v43, v222, v43, s[98:99]                 // 00000000DFE0: D100002B 018A57DE
	v_add_u32_e32 v205, 0x80, v204                             // 00000000DFE8: 699B98FF 00000080
	v_cmp_lt_u32_e64 s[98:99], v205, v220                      // 00000000DFF0: D0C90062 0003B9CD
	s_nop 0                                                    // 00000000DFF8: BF800000
	v_cndmask_b32_e64 v44, v222, v44, s[98:99]                 // 00000000DFFC: D100002C 018A59DE
	v_add_u32_e32 v205, 0x81, v204                             // 00000000E004: 699B98FF 00000081
	v_cmp_lt_u32_e64 s[98:99], v205, v220                      // 00000000E00C: D0C90062 0003B9CD
	s_nop 0                                                    // 00000000E014: BF800000
	v_cndmask_b32_e64 v45, v222, v45, s[98:99]                 // 00000000E018: D100002D 018A5BDE
	v_add_u32_e32 v205, 0x82, v204                             // 00000000E020: 699B98FF 00000082
	v_cmp_lt_u32_e64 s[98:99], v205, v220                      // 00000000E028: D0C90062 0003B9CD
	s_nop 0                                                    // 00000000E030: BF800000
	v_cndmask_b32_e64 v46, v222, v46, s[98:99]                 // 00000000E034: D100002E 018A5DDE
	v_add_u32_e32 v205, 0x83, v204                             // 00000000E03C: 699B98FF 00000083
	v_cmp_lt_u32_e64 s[98:99], v205, v220                      // 00000000E044: D0C90062 0003B9CD
	s_nop 0                                                    // 00000000E04C: BF800000
	v_cndmask_b32_e64 v47, v222, v47, s[98:99]                 // 00000000E050: D100002F 018A5FDE
	v_add_u32_e32 v205, 0xc0, v204                             // 00000000E058: 699B98FF 000000C0
	v_cmp_lt_u32_e64 s[98:99], v205, v220                      // 00000000E060: D0C90062 0003B9CD
	s_nop 0                                                    // 00000000E068: BF800000
	v_cndmask_b32_e64 v48, v222, v48, s[98:99]                 // 00000000E06C: D1000030 018A61DE
	v_add_u32_e32 v205, 0xc1, v204                             // 00000000E074: 699B98FF 000000C1
	v_cmp_lt_u32_e64 s[98:99], v205, v220                      // 00000000E07C: D0C90062 0003B9CD
	s_nop 0                                                    // 00000000E084: BF800000
	v_cndmask_b32_e64 v49, v222, v49, s[98:99]                 // 00000000E088: D1000031 018A63DE
	v_add_u32_e32 v205, 0xc2, v204                             // 00000000E090: 699B98FF 000000C2
	v_cmp_lt_u32_e64 s[98:99], v205, v220                      // 00000000E098: D0C90062 0003B9CD
	s_nop 0                                                    // 00000000E0A0: BF800000
	v_cndmask_b32_e64 v50, v222, v50, s[98:99]                 // 00000000E0A4: D1000032 018A65DE
	v_add_u32_e32 v205, 0xc3, v204                             // 00000000E0AC: 699B98FF 000000C3
	v_cmp_lt_u32_e64 s[98:99], v205, v220                      // 00000000E0B4: D0C90062 0003B9CD
	s_nop 0                                                    // 00000000E0BC: BF800000
	v_cndmask_b32_e64 v51, v222, v51, s[98:99]                 // 00000000E0C0: D1000033 018A67DE
	v_mov_b32_e32 v182, v4                                     // 00000000E0C8: 7F6C0304
	v_max3_f32 v182, v4, v5, v182                              // 00000000E0CC: D1D300B6 06DA0B04
	v_max3_f32 v182, v6, v7, v182                              // 00000000E0D4: D1D300B6 06DA0F06
	v_max3_f32 v182, v8, v9, v182                              // 00000000E0DC: D1D300B6 06DA1308
	v_max3_f32 v182, v10, v11, v182                            // 00000000E0E4: D1D300B6 06DA170A
	v_max3_f32 v182, v12, v13, v182                            // 00000000E0EC: D1D300B6 06DA1B0C
	v_max3_f32 v182, v14, v15, v182                            // 00000000E0F4: D1D300B6 06DA1F0E
	v_max3_f32 v182, v16, v17, v182                            // 00000000E0FC: D1D300B6 06DA2310
	v_max3_f32 v182, v18, v19, v182                            // 00000000E104: D1D300B6 06DA2712
	v_mov_b32_e32 v183, v20                                    // 00000000E10C: 7F6E0314
	v_max3_f32 v183, v20, v21, v183                            // 00000000E110: D1D300B7 06DE2B14
	v_max3_f32 v183, v22, v23, v183                            // 00000000E118: D1D300B7 06DE2F16
	v_max3_f32 v183, v24, v25, v183                            // 00000000E120: D1D300B7 06DE3318
	v_max3_f32 v183, v26, v27, v183                            // 00000000E128: D1D300B7 06DE371A
	v_max3_f32 v183, v28, v29, v183                            // 00000000E130: D1D300B7 06DE3B1C
	v_max3_f32 v183, v30, v31, v183                            // 00000000E138: D1D300B7 06DE3F1E
	v_max3_f32 v183, v32, v33, v183                            // 00000000E140: D1D300B7 06DE4320
	v_max3_f32 v183, v34, v35, v183                            // 00000000E148: D1D300B7 06DE4722
	v_mov_b32_e32 v184, v36                                    // 00000000E150: 7F700324
	v_max3_f32 v184, v36, v37, v184                            // 00000000E154: D1D300B8 06E24B24
	v_max3_f32 v184, v38, v39, v184                            // 00000000E15C: D1D300B8 06E24F26
	v_max3_f32 v184, v40, v41, v184                            // 00000000E164: D1D300B8 06E25328
	v_max3_f32 v184, v42, v43, v184                            // 00000000E16C: D1D300B8 06E2572A
	v_max3_f32 v184, v44, v45, v184                            // 00000000E174: D1D300B8 06E25B2C
	v_max3_f32 v184, v46, v47, v184                            // 00000000E17C: D1D300B8 06E25F2E
	v_max3_f32 v184, v48, v49, v184                            // 00000000E184: D1D300B8 06E26330
	v_max3_f32 v184, v50, v51, v184                            // 00000000E18C: D1D300B8 06E26732
	ds_bpermute_b32 v188, v208, v182                           // 00000000E194: D87E0000 BC00B6D0
	ds_bpermute_b32 v189, v209, v182                           // 00000000E19C: D87E0000 BD00B6D1
	ds_bpermute_b32 v190, v210, v182                           // 00000000E1A4: D87E0000 BE00B6D2
	ds_bpermute_b32 v191, v208, v183                           // 00000000E1AC: D87E0000 BF00B7D0
	ds_bpermute_b32 v192, v209, v183                           // 00000000E1B4: D87E0000 C000B7D1
	ds_bpermute_b32 v193, v210, v183                           // 00000000E1BC: D87E0000 C100B7D2
	ds_bpermute_b32 v194, v208, v184                           // 00000000E1C4: D87E0000 C200B8D0
	ds_bpermute_b32 v195, v209, v184                           // 00000000E1CC: D87E0000 C300B8D1
	ds_bpermute_b32 v196, v210, v184                           // 00000000E1D4: D87E0000 C400B8D2
	v_pk_mul_f32 v[124:125], v[170:171], v[124:125]            // 00000000E1DC: D3B1407C 1802F9AA
	v_pk_mul_f32 v[126:127], v[170:171], v[126:127]            // 00000000E1E4: D3B1407E 1802FDAA
	v_pk_mul_f32 v[128:129], v[170:171], v[128:129]            // 00000000E1EC: D3B14080 180301AA
	v_pk_mul_f32 v[130:131], v[170:171], v[130:131]            // 00000000E1F4: D3B14082 180305AA
	v_pk_mul_f32 v[132:133], v[172:173], v[132:133]            // 00000000E1FC: D3B14084 180309AC
	v_pk_mul_f32 v[134:135], v[172:173], v[134:135]            // 00000000E204: D3B14086 18030DAC
	v_pk_mul_f32 v[136:137], v[172:173], v[136:137]            // 00000000E20C: D3B14088 180311AC
	v_pk_mul_f32 v[138:139], v[172:173], v[138:139]            // 00000000E214: D3B1408A 180315AC
	v_pk_mul_f32 v[140:141], v[174:175], v[140:141]            // 00000000E21C: D3B1408C 180319AE
	v_pk_mul_f32 v[142:143], v[174:175], v[142:143]            // 00000000E224: D3B1408E 18031DAE
	v_pk_mul_f32 v[144:145], v[174:175], v[144:145]            // 00000000E22C: D3B14090 180321AE
	v_pk_mul_f32 v[146:147], v[174:175], v[146:147]            // 00000000E234: D3B14092 180325AE
	s_waitcnt lgkmcnt(6)                                       // 00000000E23C: BF8CC67F
	v_max3_f32 v182, v188, v189, v182                          // 00000000E240: D1D300B6 06DB7BBC
	v_max_f32_e32 v182, v190, v182                             // 00000000E248: 176D6DBE
	s_waitcnt lgkmcnt(3)                                       // 00000000E24C: BF8CC37F
	v_max3_f32 v183, v191, v192, v183                          // 00000000E250: D1D300B7 06DF81BF
	v_max_f32_e32 v183, v193, v183                             // 00000000E258: 176F6FC1
	s_waitcnt lgkmcnt(0)                                       // 00000000E25C: BF8CC07F
	v_max3_f32 v184, v194, v195, v184                          // 00000000E260: D1D300B8 06E387C2
	v_max_f32_e32 v184, v196, v184                             // 00000000E268: 177171C4
	ds_write_b128 v249, v[182:185]                             // 00000000E26C: D9BE0000 0000B6F9
	s_waitcnt lgkmcnt(0)                                       // 00000000E274: BF8CC07F
	s_barrier                                                  // 00000000E278: BF8A0000
	ds_read_b128 v[188:191], v250                              // 00000000E27C: D9FE0000 BC0000FA
	ds_read_b128 v[192:195], v250 offset:256                   // 00000000E284: D9FE0100 C00000FA
	ds_read_b128 v[196:199], v250 offset:512                   // 00000000E28C: D9FE0200 C40000FA
	ds_read_b128 v[200:203], v250 offset:768                   // 00000000E294: D9FE0300 C80000FA
	v_pk_mul_f32 v[100:101], v[158:159], v[100:101]            // 00000000E29C: D3B14064 1802C99E
	v_pk_mul_f32 v[102:103], v[158:159], v[102:103]            // 00000000E2A4: D3B14066 1802CD9E
	v_pk_mul_f32 v[104:105], v[158:159], v[104:105]            // 00000000E2AC: D3B14068 1802D19E
	v_pk_mul_f32 v[106:107], v[158:159], v[106:107]            // 00000000E2B4: D3B1406A 1802D59E
	v_pk_mul_f32 v[108:109], v[160:161], v[108:109]            // 00000000E2BC: D3B1406C 1802D9A0
	v_pk_mul_f32 v[110:111], v[160:161], v[110:111]            // 00000000E2C4: D3B1406E 1802DDA0
	v_pk_mul_f32 v[112:113], v[160:161], v[112:113]            // 00000000E2CC: D3B14070 1802E1A0
	v_pk_mul_f32 v[114:115], v[160:161], v[114:115]            // 00000000E2D4: D3B14072 1802E5A0
	v_pk_mul_f32 v[116:117], v[162:163], v[116:117]            // 00000000E2DC: D3B14074 1802E9A2
	v_pk_mul_f32 v[118:119], v[162:163], v[118:119]            // 00000000E2E4: D3B14076 1802EDA2
	v_pk_mul_f32 v[120:121], v[162:163], v[120:121]            // 00000000E2EC: D3B14078 1802F1A2
	v_pk_mul_f32 v[122:123], v[162:163], v[122:123]            // 00000000E2F4: D3B1407A 1802F5A2
	s_waitcnt lgkmcnt(0)                                       // 00000000E2FC: BF8CC07F
	v_max3_f32 v182, v188, v192, v182                          // 00000000E300: D1D300B6 06DB81BC
	v_max3_f32 v183, v189, v193, v183                          // 00000000E308: D1D300B7 06DF83BD
	v_max3_f32 v184, v190, v194, v184                          // 00000000E310: D1D300B8 06E385BE
	v_max3_f32 v182, v196, v200, v182                          // 00000000E318: D1D300B6 06DB91C4
	v_max3_f32 v183, v197, v201, v183                          // 00000000E320: D1D300B7 06DF93C5
	v_max3_f32 v184, v198, v202, v184                          // 00000000E328: D1D300B8 06E395C6
	v_max_f32_e32 v167, v182, v164                             // 00000000E330: 174F49B6
	v_mul_f32_e64 v204, -s46, v167                             // 00000000E334: D10500CC 20034E2E
	v_mov_b32_e32 v205, v204                                   // 00000000E33C: 7F9A03CC
	v_pk_fma_f32 v[4:5], v[4:5], s[46:47], v[204:205]          // 00000000E340: D3B04004 1F305D04
	v_pk_fma_f32 v[6:7], v[6:7], s[46:47], v[204:205]          // 00000000E348: D3B04006 1F305D06
	v_exp_f32_e32 v4, v4                                       // 00000000E350: 7E084104
	v_exp_f32_e32 v5, v5                                       // 00000000E354: 7E0A4105
	v_exp_f32_e32 v6, v6                                       // 00000000E358: 7E0C4106
	v_exp_f32_e32 v7, v7                                       // 00000000E35C: 7E0E4107
	v_pk_fma_f32 v[8:9], v[8:9], s[46:47], v[204:205]          // 00000000E360: D3B04008 1F305D08
	v_pk_fma_f32 v[10:11], v[10:11], s[46:47], v[204:205]      // 00000000E368: D3B0400A 1F305D0A
	v_exp_f32_e32 v8, v8                                       // 00000000E370: 7E104108
	v_exp_f32_e32 v9, v9                                       // 00000000E374: 7E124109
	v_exp_f32_e32 v10, v10                                     // 00000000E378: 7E14410A
	v_exp_f32_e32 v11, v11                                     // 00000000E37C: 7E16410B
	v_pk_fma_f32 v[12:13], v[12:13], s[46:47], v[204:205]      // 00000000E380: D3B0400C 1F305D0C
	v_pk_fma_f32 v[14:15], v[14:15], s[46:47], v[204:205]      // 00000000E388: D3B0400E 1F305D0E
	v_exp_f32_e32 v12, v12                                     // 00000000E390: 7E18410C
	v_exp_f32_e32 v13, v13                                     // 00000000E394: 7E1A410D
	v_exp_f32_e32 v14, v14                                     // 00000000E398: 7E1C410E
	v_exp_f32_e32 v15, v15                                     // 00000000E39C: 7E1E410F
	v_pk_fma_f32 v[16:17], v[16:17], s[46:47], v[204:205]      // 00000000E3A0: D3B04010 1F305D10
	v_pk_fma_f32 v[18:19], v[18:19], s[46:47], v[204:205]      // 00000000E3A8: D3B04012 1F305D12
	v_exp_f32_e32 v16, v16                                     // 00000000E3B0: 7E204110
	v_exp_f32_e32 v17, v17                                     // 00000000E3B4: 7E224111
	v_exp_f32_e32 v18, v18                                     // 00000000E3B8: 7E244112
	v_exp_f32_e32 v19, v19                                     // 00000000E3BC: 7E264113
	v_max_f32_e32 v168, v183, v165                             // 00000000E3C0: 17514BB7
	v_mul_f32_e64 v204, -s46, v168                             // 00000000E3C4: D10500CC 2003502E
	v_mov_b32_e32 v205, v204                                   // 00000000E3CC: 7F9A03CC
	v_pk_fma_f32 v[20:21], v[20:21], s[46:47], v[204:205]      // 00000000E3D0: D3B04014 1F305D14
	v_pk_fma_f32 v[22:23], v[22:23], s[46:47], v[204:205]      // 00000000E3D8: D3B04016 1F305D16
	v_exp_f32_e32 v20, v20                                     // 00000000E3E0: 7E284114
	v_exp_f32_e32 v21, v21                                     // 00000000E3E4: 7E2A4115
	v_exp_f32_e32 v22, v22                                     // 00000000E3E8: 7E2C4116
	v_exp_f32_e32 v23, v23                                     // 00000000E3EC: 7E2E4117
	v_pk_fma_f32 v[24:25], v[24:25], s[46:47], v[204:205]      // 00000000E3F0: D3B04018 1F305D18
	v_pk_fma_f32 v[26:27], v[26:27], s[46:47], v[204:205]      // 00000000E3F8: D3B0401A 1F305D1A
	v_exp_f32_e32 v24, v24                                     // 00000000E400: 7E304118
	v_exp_f32_e32 v25, v25                                     // 00000000E404: 7E324119
	v_exp_f32_e32 v26, v26                                     // 00000000E408: 7E34411A
	v_exp_f32_e32 v27, v27                                     // 00000000E40C: 7E36411B
	v_pk_fma_f32 v[28:29], v[28:29], s[46:47], v[204:205]      // 00000000E410: D3B0401C 1F305D1C
	v_pk_fma_f32 v[30:31], v[30:31], s[46:47], v[204:205]      // 00000000E418: D3B0401E 1F305D1E
	v_exp_f32_e32 v28, v28                                     // 00000000E420: 7E38411C
	v_exp_f32_e32 v29, v29                                     // 00000000E424: 7E3A411D
	v_exp_f32_e32 v30, v30                                     // 00000000E428: 7E3C411E
	v_exp_f32_e32 v31, v31                                     // 00000000E42C: 7E3E411F
	v_pk_fma_f32 v[32:33], v[32:33], s[46:47], v[204:205]      // 00000000E430: D3B04020 1F305D20
	v_pk_fma_f32 v[34:35], v[34:35], s[46:47], v[204:205]      // 00000000E438: D3B04022 1F305D22
	v_exp_f32_e32 v32, v32                                     // 00000000E440: 7E404120
	v_exp_f32_e32 v33, v33                                     // 00000000E444: 7E424121
	v_exp_f32_e32 v34, v34                                     // 00000000E448: 7E444122
	v_exp_f32_e32 v35, v35                                     // 00000000E44C: 7E464123
	v_max_f32_e32 v169, v184, v166                             // 00000000E450: 17534DB8
	v_mul_f32_e64 v204, -s46, v169                             // 00000000E454: D10500CC 2003522E
	v_mov_b32_e32 v205, v204                                   // 00000000E45C: 7F9A03CC
	v_pk_fma_f32 v[36:37], v[36:37], s[46:47], v[204:205]      // 00000000E460: D3B04024 1F305D24
	v_pk_fma_f32 v[38:39], v[38:39], s[46:47], v[204:205]      // 00000000E468: D3B04026 1F305D26
	v_exp_f32_e32 v36, v36                                     // 00000000E470: 7E484124
	v_exp_f32_e32 v37, v37                                     // 00000000E474: 7E4A4125
	v_exp_f32_e32 v38, v38                                     // 00000000E478: 7E4C4126
	v_exp_f32_e32 v39, v39                                     // 00000000E47C: 7E4E4127
	v_pk_fma_f32 v[40:41], v[40:41], s[46:47], v[204:205]      // 00000000E480: D3B04028 1F305D28
	v_pk_fma_f32 v[42:43], v[42:43], s[46:47], v[204:205]      // 00000000E488: D3B0402A 1F305D2A
	v_exp_f32_e32 v40, v40                                     // 00000000E490: 7E504128
	v_exp_f32_e32 v41, v41                                     // 00000000E494: 7E524129
	v_exp_f32_e32 v42, v42                                     // 00000000E498: 7E54412A
	v_exp_f32_e32 v43, v43                                     // 00000000E49C: 7E56412B
	v_pk_fma_f32 v[44:45], v[44:45], s[46:47], v[204:205]      // 00000000E4A0: D3B0402C 1F305D2C
	v_pk_fma_f32 v[46:47], v[46:47], s[46:47], v[204:205]      // 00000000E4A8: D3B0402E 1F305D2E
	v_exp_f32_e32 v44, v44                                     // 00000000E4B0: 7E58412C
	v_exp_f32_e32 v45, v45                                     // 00000000E4B4: 7E5A412D
	v_exp_f32_e32 v46, v46                                     // 00000000E4B8: 7E5C412E
	v_exp_f32_e32 v47, v47                                     // 00000000E4BC: 7E5E412F
	v_pk_fma_f32 v[48:49], v[48:49], s[46:47], v[204:205]      // 00000000E4C0: D3B04030 1F305D30
	v_pk_fma_f32 v[50:51], v[50:51], s[46:47], v[204:205]      // 00000000E4C8: D3B04032 1F305D32
	v_exp_f32_e32 v48, v48                                     // 00000000E4D0: 7E604130
	v_exp_f32_e32 v49, v49                                     // 00000000E4D4: 7E624131
	v_exp_f32_e32 v50, v50                                     // 00000000E4D8: 7E644132
	v_exp_f32_e32 v51, v51                                     // 00000000E4DC: 7E664133
	v_mul_f32_dpp v52, v157, v4 row_newbcast:0 row_mask:0xf bank_mask:0xf// 00000000E4E0: 0A6808FA FF01509D
	v_mul_f32_dpp v53, v157, v5 row_newbcast:1 row_mask:0xf bank_mask:0xf// 00000000E4E8: 0A6A0AFA FF01519D
	v_mul_f32_dpp v54, v157, v6 row_newbcast:2 row_mask:0xf bank_mask:0xf// 00000000E4F0: 0A6C0CFA FF01529D
	v_mul_f32_dpp v55, v157, v7 row_newbcast:3 row_mask:0xf bank_mask:0xf// 00000000E4F8: 0A6E0EFA FF01539D
	v_mul_f32_dpp v56, v157, v8 row_newbcast:4 row_mask:0xf bank_mask:0xf// 00000000E500: 0A7010FA FF01549D
	v_mul_f32_dpp v57, v157, v9 row_newbcast:5 row_mask:0xf bank_mask:0xf// 00000000E508: 0A7212FA FF01559D
	v_mul_f32_dpp v58, v157, v10 row_newbcast:6 row_mask:0xf bank_mask:0xf// 00000000E510: 0A7414FA FF01569D
	v_mul_f32_dpp v59, v157, v11 row_newbcast:7 row_mask:0xf bank_mask:0xf// 00000000E518: 0A7616FA FF01579D
	v_mul_f32_dpp v60, v157, v12 row_newbcast:8 row_mask:0xf bank_mask:0xf// 00000000E520: 0A7818FA FF01589D
	v_mul_f32_dpp v61, v157, v13 row_newbcast:9 row_mask:0xf bank_mask:0xf// 00000000E528: 0A7A1AFA FF01599D
	v_mul_f32_dpp v62, v157, v14 row_newbcast:10 row_mask:0xf bank_mask:0xf// 00000000E530: 0A7C1CFA FF015A9D
	v_mul_f32_dpp v63, v157, v15 row_newbcast:11 row_mask:0xf bank_mask:0xf// 00000000E538: 0A7E1EFA FF015B9D
	v_mul_f32_dpp v64, v157, v16 row_newbcast:12 row_mask:0xf bank_mask:0xf// 00000000E540: 0A8020FA FF015C9D
	v_mul_f32_dpp v65, v157, v17 row_newbcast:13 row_mask:0xf bank_mask:0xf// 00000000E548: 0A8222FA FF015D9D
	v_mul_f32_dpp v66, v157, v18 row_newbcast:14 row_mask:0xf bank_mask:0xf// 00000000E550: 0A8424FA FF015E9D
	v_mul_f32_dpp v67, v157, v19 row_newbcast:15 row_mask:0xf bank_mask:0xf// 00000000E558: 0A8626FA FF015F9D
	v_mul_f32_dpp v68, v157, v20 row_newbcast:0 row_mask:0xf bank_mask:0xf// 00000000E560: 0A8828FA FF01509D
	v_mul_f32_dpp v69, v157, v21 row_newbcast:1 row_mask:0xf bank_mask:0xf// 00000000E568: 0A8A2AFA FF01519D
	v_mul_f32_dpp v70, v157, v22 row_newbcast:2 row_mask:0xf bank_mask:0xf// 00000000E570: 0A8C2CFA FF01529D
	v_mul_f32_dpp v71, v157, v23 row_newbcast:3 row_mask:0xf bank_mask:0xf// 00000000E578: 0A8E2EFA FF01539D
	v_mul_f32_dpp v72, v157, v24 row_newbcast:4 row_mask:0xf bank_mask:0xf// 00000000E580: 0A9030FA FF01549D
	v_mul_f32_dpp v73, v157, v25 row_newbcast:5 row_mask:0xf bank_mask:0xf// 00000000E588: 0A9232FA FF01559D
	v_mul_f32_dpp v74, v157, v26 row_newbcast:6 row_mask:0xf bank_mask:0xf// 00000000E590: 0A9434FA FF01569D
	v_mul_f32_dpp v75, v157, v27 row_newbcast:7 row_mask:0xf bank_mask:0xf// 00000000E598: 0A9636FA FF01579D
	v_mul_f32_dpp v76, v157, v28 row_newbcast:8 row_mask:0xf bank_mask:0xf// 00000000E5A0: 0A9838FA FF01589D
	v_mul_f32_dpp v77, v157, v29 row_newbcast:9 row_mask:0xf bank_mask:0xf// 00000000E5A8: 0A9A3AFA FF01599D
	v_mul_f32_dpp v78, v157, v30 row_newbcast:10 row_mask:0xf bank_mask:0xf// 00000000E5B0: 0A9C3CFA FF015A9D
	v_mul_f32_dpp v79, v157, v31 row_newbcast:11 row_mask:0xf bank_mask:0xf// 00000000E5B8: 0A9E3EFA FF015B9D
	v_mul_f32_dpp v80, v157, v32 row_newbcast:12 row_mask:0xf bank_mask:0xf// 00000000E5C0: 0AA040FA FF015C9D
	v_mul_f32_dpp v81, v157, v33 row_newbcast:13 row_mask:0xf bank_mask:0xf// 00000000E5C8: 0AA242FA FF015D9D
	v_mul_f32_dpp v82, v157, v34 row_newbcast:14 row_mask:0xf bank_mask:0xf// 00000000E5D0: 0AA444FA FF015E9D
	v_mul_f32_dpp v83, v157, v35 row_newbcast:15 row_mask:0xf bank_mask:0xf// 00000000E5D8: 0AA646FA FF015F9D
	v_mul_f32_dpp v84, v157, v36 row_newbcast:0 row_mask:0xf bank_mask:0xf// 00000000E5E0: 0AA848FA FF01509D
	v_mul_f32_dpp v85, v157, v37 row_newbcast:1 row_mask:0xf bank_mask:0xf// 00000000E5E8: 0AAA4AFA FF01519D
	v_mul_f32_dpp v86, v157, v38 row_newbcast:2 row_mask:0xf bank_mask:0xf// 00000000E5F0: 0AAC4CFA FF01529D
	v_mul_f32_dpp v87, v157, v39 row_newbcast:3 row_mask:0xf bank_mask:0xf// 00000000E5F8: 0AAE4EFA FF01539D
	v_mul_f32_dpp v88, v157, v40 row_newbcast:4 row_mask:0xf bank_mask:0xf// 00000000E600: 0AB050FA FF01549D
	v_mul_f32_dpp v89, v157, v41 row_newbcast:5 row_mask:0xf bank_mask:0xf// 00000000E608: 0AB252FA FF01559D
	v_mul_f32_dpp v90, v157, v42 row_newbcast:6 row_mask:0xf bank_mask:0xf// 00000000E610: 0AB454FA FF01569D
	v_mul_f32_dpp v91, v157, v43 row_newbcast:7 row_mask:0xf bank_mask:0xf// 00000000E618: 0AB656FA FF01579D
	v_mul_f32_dpp v92, v157, v44 row_newbcast:8 row_mask:0xf bank_mask:0xf// 00000000E620: 0AB858FA FF01589D
	v_mul_f32_dpp v93, v157, v45 row_newbcast:9 row_mask:0xf bank_mask:0xf// 00000000E628: 0ABA5AFA FF01599D
	v_mul_f32_dpp v94, v157, v46 row_newbcast:10 row_mask:0xf bank_mask:0xf// 00000000E630: 0ABC5CFA FF015A9D
	v_mul_f32_dpp v95, v157, v47 row_newbcast:11 row_mask:0xf bank_mask:0xf// 00000000E638: 0ABE5EFA FF015B9D
	v_mul_f32_dpp v96, v157, v48 row_newbcast:12 row_mask:0xf bank_mask:0xf// 00000000E640: 0AC060FA FF015C9D
	v_mul_f32_dpp v97, v157, v49 row_newbcast:13 row_mask:0xf bank_mask:0xf// 00000000E648: 0AC262FA FF015D9D
	v_mul_f32_dpp v98, v157, v50 row_newbcast:14 row_mask:0xf bank_mask:0xf// 00000000E650: 0AC464FA FF015E9D
	v_mul_f32_dpp v99, v157, v51 row_newbcast:15 row_mask:0xf bank_mask:0xf// 00000000E658: 0AC666FA FF015F9D
	v_add_u32_e32 v204, s64, v221                              // 00000000E660: 6999BA40
	v_add_u32_e32 v205, 0, v204                                // 00000000E664: 699B9880
	v_cmp_lt_u32_e32 vcc, v205, v218                           // 00000000E668: 7D93B5CD
	v_cndmask_b32_e32 v52, 0, v52, vcc                         // 00000000E66C: 00686880
	v_cmp_lt_u32_e32 vcc, v205, v219                           // 00000000E670: 7D93B7CD
	v_cndmask_b32_e32 v68, 0, v68, vcc                         // 00000000E674: 00888880
	v_cmp_lt_u32_e32 vcc, v205, v220                           // 00000000E678: 7D93B9CD
	v_cndmask_b32_e32 v84, 0, v84, vcc                         // 00000000E67C: 00A8A880
	v_add_u32_e32 v205, 1, v204                                // 00000000E680: 699B9881
	v_cmp_lt_u32_e32 vcc, v205, v218                           // 00000000E684: 7D93B5CD
	v_cndmask_b32_e32 v53, 0, v53, vcc                         // 00000000E688: 006A6A80
	v_cmp_lt_u32_e32 vcc, v205, v219                           // 00000000E68C: 7D93B7CD
	v_cndmask_b32_e32 v69, 0, v69, vcc                         // 00000000E690: 008A8A80
	v_cmp_lt_u32_e32 vcc, v205, v220                           // 00000000E694: 7D93B9CD
	v_cndmask_b32_e32 v85, 0, v85, vcc                         // 00000000E698: 00AAAA80
	v_add_u32_e32 v205, 2, v204                                // 00000000E69C: 699B9882
	v_cmp_lt_u32_e32 vcc, v205, v218                           // 00000000E6A0: 7D93B5CD
	v_cndmask_b32_e32 v54, 0, v54, vcc                         // 00000000E6A4: 006C6C80
	v_cmp_lt_u32_e32 vcc, v205, v219                           // 00000000E6A8: 7D93B7CD
	v_cndmask_b32_e32 v70, 0, v70, vcc                         // 00000000E6AC: 008C8C80
	v_cmp_lt_u32_e32 vcc, v205, v220                           // 00000000E6B0: 7D93B9CD
	v_cndmask_b32_e32 v86, 0, v86, vcc                         // 00000000E6B4: 00ACAC80
	v_add_u32_e32 v205, 3, v204                                // 00000000E6B8: 699B9883
	v_cmp_lt_u32_e32 vcc, v205, v218                           // 00000000E6BC: 7D93B5CD
	v_cndmask_b32_e32 v55, 0, v55, vcc                         // 00000000E6C0: 006E6E80
	v_cmp_lt_u32_e32 vcc, v205, v219                           // 00000000E6C4: 7D93B7CD
	v_cndmask_b32_e32 v71, 0, v71, vcc                         // 00000000E6C8: 008E8E80
	v_cmp_lt_u32_e32 vcc, v205, v220                           // 00000000E6CC: 7D93B9CD
	v_cndmask_b32_e32 v87, 0, v87, vcc                         // 00000000E6D0: 00AEAE80
	v_add_u32_e32 v205, 64, v204                               // 00000000E6D4: 699B98C0
	v_cmp_lt_u32_e32 vcc, v205, v218                           // 00000000E6D8: 7D93B5CD
	v_cndmask_b32_e32 v56, 0, v56, vcc                         // 00000000E6DC: 00707080
	v_cmp_lt_u32_e32 vcc, v205, v219                           // 00000000E6E0: 7D93B7CD
	v_cndmask_b32_e32 v72, 0, v72, vcc                         // 00000000E6E4: 00909080
	v_cmp_lt_u32_e32 vcc, v205, v220                           // 00000000E6E8: 7D93B9CD
	v_cndmask_b32_e32 v88, 0, v88, vcc                         // 00000000E6EC: 00B0B080
	v_add_u32_e32 v205, 0x41, v204                             // 00000000E6F0: 699B98FF 00000041
	v_cmp_lt_u32_e32 vcc, v205, v218                           // 00000000E6F8: 7D93B5CD
	v_cndmask_b32_e32 v57, 0, v57, vcc                         // 00000000E6FC: 00727280
	v_cmp_lt_u32_e32 vcc, v205, v219                           // 00000000E700: 7D93B7CD
	v_cndmask_b32_e32 v73, 0, v73, vcc                         // 00000000E704: 00929280
	v_cmp_lt_u32_e32 vcc, v205, v220                           // 00000000E708: 7D93B9CD
	v_cndmask_b32_e32 v89, 0, v89, vcc                         // 00000000E70C: 00B2B280
	v_add_u32_e32 v205, 0x42, v204                             // 00000000E710: 699B98FF 00000042
	v_cmp_lt_u32_e32 vcc, v205, v218                           // 00000000E718: 7D93B5CD
	v_cndmask_b32_e32 v58, 0, v58, vcc                         // 00000000E71C: 00747480
	v_cmp_lt_u32_e32 vcc, v205, v219                           // 00000000E720: 7D93B7CD
	v_cndmask_b32_e32 v74, 0, v74, vcc                         // 00000000E724: 00949480
	v_cmp_lt_u32_e32 vcc, v205, v220                           // 00000000E728: 7D93B9CD
	v_cndmask_b32_e32 v90, 0, v90, vcc                         // 00000000E72C: 00B4B480
	v_add_u32_e32 v205, 0x43, v204                             // 00000000E730: 699B98FF 00000043
	v_cmp_lt_u32_e32 vcc, v205, v218                           // 00000000E738: 7D93B5CD
	v_cndmask_b32_e32 v59, 0, v59, vcc                         // 00000000E73C: 00767680
	v_cmp_lt_u32_e32 vcc, v205, v219                           // 00000000E740: 7D93B7CD
	v_cndmask_b32_e32 v75, 0, v75, vcc                         // 00000000E744: 00969680
	v_cmp_lt_u32_e32 vcc, v205, v220                           // 00000000E748: 7D93B9CD
	v_cndmask_b32_e32 v91, 0, v91, vcc                         // 00000000E74C: 00B6B680
	v_add_u32_e32 v205, 0x80, v204                             // 00000000E750: 699B98FF 00000080
	v_cmp_lt_u32_e32 vcc, v205, v218                           // 00000000E758: 7D93B5CD
	v_cndmask_b32_e32 v60, 0, v60, vcc                         // 00000000E75C: 00787880
	v_cmp_lt_u32_e32 vcc, v205, v219                           // 00000000E760: 7D93B7CD
	v_cndmask_b32_e32 v76, 0, v76, vcc                         // 00000000E764: 00989880
	v_cmp_lt_u32_e32 vcc, v205, v220                           // 00000000E768: 7D93B9CD
	v_cndmask_b32_e32 v92, 0, v92, vcc                         // 00000000E76C: 00B8B880
	v_add_u32_e32 v205, 0x81, v204                             // 00000000E770: 699B98FF 00000081
	v_cmp_lt_u32_e32 vcc, v205, v218                           // 00000000E778: 7D93B5CD
	v_cndmask_b32_e32 v61, 0, v61, vcc                         // 00000000E77C: 007A7A80
	v_cmp_lt_u32_e32 vcc, v205, v219                           // 00000000E780: 7D93B7CD
	v_cndmask_b32_e32 v77, 0, v77, vcc                         // 00000000E784: 009A9A80
	v_cmp_lt_u32_e32 vcc, v205, v220                           // 00000000E788: 7D93B9CD
	v_cndmask_b32_e32 v93, 0, v93, vcc                         // 00000000E78C: 00BABA80
	v_add_u32_e32 v205, 0x82, v204                             // 00000000E790: 699B98FF 00000082
	v_cmp_lt_u32_e32 vcc, v205, v218                           // 00000000E798: 7D93B5CD
	v_cndmask_b32_e32 v62, 0, v62, vcc                         // 00000000E79C: 007C7C80
	v_cmp_lt_u32_e32 vcc, v205, v219                           // 00000000E7A0: 7D93B7CD
	v_cndmask_b32_e32 v78, 0, v78, vcc                         // 00000000E7A4: 009C9C80
	v_cmp_lt_u32_e32 vcc, v205, v220                           // 00000000E7A8: 7D93B9CD
	v_cndmask_b32_e32 v94, 0, v94, vcc                         // 00000000E7AC: 00BCBC80
	v_add_u32_e32 v205, 0x83, v204                             // 00000000E7B0: 699B98FF 00000083
	v_cmp_lt_u32_e32 vcc, v205, v218                           // 00000000E7B8: 7D93B5CD
	v_cndmask_b32_e32 v63, 0, v63, vcc                         // 00000000E7BC: 007E7E80
	v_cmp_lt_u32_e32 vcc, v205, v219                           // 00000000E7C0: 7D93B7CD
	v_cndmask_b32_e32 v79, 0, v79, vcc                         // 00000000E7C4: 009E9E80
	v_cmp_lt_u32_e32 vcc, v205, v220                           // 00000000E7C8: 7D93B9CD
	v_cndmask_b32_e32 v95, 0, v95, vcc                         // 00000000E7CC: 00BEBE80
	v_add_u32_e32 v205, 0xc0, v204                             // 00000000E7D0: 699B98FF 000000C0
	v_cmp_lt_u32_e32 vcc, v205, v218                           // 00000000E7D8: 7D93B5CD
	v_cndmask_b32_e32 v64, 0, v64, vcc                         // 00000000E7DC: 00808080
	v_cmp_lt_u32_e32 vcc, v205, v219                           // 00000000E7E0: 7D93B7CD
	v_cndmask_b32_e32 v80, 0, v80, vcc                         // 00000000E7E4: 00A0A080
	v_cmp_lt_u32_e32 vcc, v205, v220                           // 00000000E7E8: 7D93B9CD
	v_cndmask_b32_e32 v96, 0, v96, vcc                         // 00000000E7EC: 00C0C080
	v_add_u32_e32 v205, 0xc1, v204                             // 00000000E7F0: 699B98FF 000000C1
	v_cmp_lt_u32_e32 vcc, v205, v218                           // 00000000E7F8: 7D93B5CD
	v_cndmask_b32_e32 v65, 0, v65, vcc                         // 00000000E7FC: 00828280
	v_cmp_lt_u32_e32 vcc, v205, v219                           // 00000000E800: 7D93B7CD
	v_cndmask_b32_e32 v81, 0, v81, vcc                         // 00000000E804: 00A2A280
	v_cmp_lt_u32_e32 vcc, v205, v220                           // 00000000E808: 7D93B9CD
	v_cndmask_b32_e32 v97, 0, v97, vcc                         // 00000000E80C: 00C2C280
	v_add_u32_e32 v205, 0xc2, v204                             // 00000000E810: 699B98FF 000000C2
	v_cmp_lt_u32_e32 vcc, v205, v218                           // 00000000E818: 7D93B5CD
	v_cndmask_b32_e32 v66, 0, v66, vcc                         // 00000000E81C: 00848480
	v_cmp_lt_u32_e32 vcc, v205, v219                           // 00000000E820: 7D93B7CD
	v_cndmask_b32_e32 v82, 0, v82, vcc                         // 00000000E824: 00A4A480
	v_cmp_lt_u32_e32 vcc, v205, v220                           // 00000000E828: 7D93B9CD
	v_cndmask_b32_e32 v98, 0, v98, vcc                         // 00000000E82C: 00C4C480
	v_add_u32_e32 v205, 0xc3, v204                             // 00000000E830: 699B98FF 000000C3
	v_cmp_lt_u32_e32 vcc, v205, v218                           // 00000000E838: 7D93B5CD
	v_cndmask_b32_e32 v67, 0, v67, vcc                         // 00000000E83C: 00868680
	v_cmp_lt_u32_e32 vcc, v205, v219                           // 00000000E840: 7D93B7CD
	v_cndmask_b32_e32 v83, 0, v83, vcc                         // 00000000E844: 00A6A680
	v_cmp_lt_u32_e32 vcc, v205, v220                           // 00000000E848: 7D93B9CD
	v_cndmask_b32_e32 v99, 0, v99, vcc                         // 00000000E84C: 00C6C680
	buffer_load_dword v154, v235, s[20:23], 0 offen            // 00000000E850: E0501000 80059AEB
	v_sub_f32_e32 v170, v164, v167                             // 00000000E858: 05554FA4
	v_cmp_eq_u32_e64 s[98:99], v222, v164                      // 00000000E85C: D0CA0062 000349DE
	v_cndmask_b32_e64 v170, v170, 0, s[98:99]                  // 00000000E864: D10000AA 018901AA
	v_mov_b32_e32 v164, v167                                   // 00000000E86C: 7F4803A7
	v_mul_f32_e32 v170, s46, v170                              // 00000000E870: 0B55542E
	v_exp_f32_e32 v170, v170                                   // 00000000E874: 7F5441AA
	v_sub_f32_e32 v172, v165, v168                             // 00000000E878: 055951A5
	v_cmp_eq_u32_e64 s[98:99], v222, v165                      // 00000000E87C: D0CA0062 00034BDE
	v_cndmask_b32_e64 v172, v172, 0, s[98:99]                  // 00000000E884: D10000AC 018901AC
	v_mov_b32_e32 v165, v168                                   // 00000000E88C: 7F4A03A8
	v_mul_f32_e32 v172, s46, v172                              // 00000000E890: 0B59582E
	v_exp_f32_e32 v172, v172                                   // 00000000E894: 7F5841AC
	v_sub_f32_e32 v174, v166, v169                             // 00000000E898: 055D53A6
	v_cmp_eq_u32_e64 s[98:99], v222, v166                      // 00000000E89C: D0CA0062 00034DDE
	v_cndmask_b32_e64 v174, v174, 0, s[98:99]                  // 00000000E8A4: D10000AE 018901AE
	v_mov_b32_e32 v166, v169                                   // 00000000E8AC: 7F4C03A9
	v_mul_f32_e32 v174, s46, v174                              // 00000000E8B0: 0B5D5C2E
	v_exp_f32_e32 v174, v174                                   // 00000000E8B4: 7F5C41AE
	v_mov_b32_e32 v171, v170                                   // 00000000E8B8: 7F5603AA
	v_mov_b32_e32 v173, v172                                   // 00000000E8BC: 7F5A03AC
	v_mov_b32_e32 v175, v174                                   // 00000000E8C0: 7F5E03AE
	s_waitcnt lgkmcnt(0)                                       // 00000000E8C4: BF8CC07F
	s_barrier                                                  // 00000000E8C8: BF8A0000
	buffer_load_dword v156, v236, s[24:27], 0 offen            // 00000000E8CC: E0501000 80069CEC
	v_mul_f32_e32 v176, v170, v176                             // 00000000E8D4: 0B6161AA
	v_mov_b32_e32 v177, 0                                      // 00000000E8D8: 7F620280
	v_pk_add_f32 v[176:177], v[4:5], v[176:177]                // 00000000E8DC: D3B240B0 18036104
	v_pk_add_f32 v[176:177], v[6:7], v[176:177]                // 00000000E8E4: D3B240B0 18036106
	v_pk_add_f32 v[176:177], v[8:9], v[176:177]                // 00000000E8EC: D3B240B0 18036108
	v_pk_add_f32 v[176:177], v[10:11], v[176:177]              // 00000000E8F4: D3B240B0 1803610A
	v_pk_add_f32 v[176:177], v[12:13], v[176:177]              // 00000000E8FC: D3B240B0 1803610C
	v_pk_add_f32 v[176:177], v[14:15], v[176:177]              // 00000000E904: D3B240B0 1803610E
	v_pk_add_f32 v[176:177], v[16:17], v[176:177]              // 00000000E90C: D3B240B0 18036110
	v_pk_add_f32 v[176:177], v[18:19], v[176:177]              // 00000000E914: D3B240B0 18036112
	v_add_f32_e32 v176, v177, v176                             // 00000000E91C: 036161B1
	v_mul_f32_e32 v178, v172, v178                             // 00000000E920: 0B6565AC
	v_mov_b32_e32 v179, 0                                      // 00000000E924: 7F660280
	v_pk_add_f32 v[178:179], v[20:21], v[178:179]              // 00000000E928: D3B240B2 18036514
	v_pk_add_f32 v[178:179], v[22:23], v[178:179]              // 00000000E930: D3B240B2 18036516
	v_pk_add_f32 v[178:179], v[24:25], v[178:179]              // 00000000E938: D3B240B2 18036518
	v_pk_add_f32 v[178:179], v[26:27], v[178:179]              // 00000000E940: D3B240B2 1803651A
	v_pk_add_f32 v[178:179], v[28:29], v[178:179]              // 00000000E948: D3B240B2 1803651C
	v_pk_add_f32 v[178:179], v[30:31], v[178:179]              // 00000000E950: D3B240B2 1803651E
	v_pk_add_f32 v[178:179], v[32:33], v[178:179]              // 00000000E958: D3B240B2 18036520
	v_pk_add_f32 v[178:179], v[34:35], v[178:179]              // 00000000E960: D3B240B2 18036522
	v_add_f32_e32 v178, v179, v178                             // 00000000E968: 036565B3
	v_mul_f32_e32 v180, v174, v180                             // 00000000E96C: 0B6969AE
	v_mov_b32_e32 v181, 0                                      // 00000000E970: 7F6A0280
	v_pk_add_f32 v[180:181], v[36:37], v[180:181]              // 00000000E974: D3B240B4 18036924
	v_pk_add_f32 v[180:181], v[38:39], v[180:181]              // 00000000E97C: D3B240B4 18036926
	v_pk_add_f32 v[180:181], v[40:41], v[180:181]              // 00000000E984: D3B240B4 18036928
	v_pk_add_f32 v[180:181], v[42:43], v[180:181]              // 00000000E98C: D3B240B4 1803692A
	v_pk_add_f32 v[180:181], v[44:45], v[180:181]              // 00000000E994: D3B240B4 1803692C
	v_pk_add_f32 v[180:181], v[46:47], v[180:181]              // 00000000E99C: D3B240B4 1803692E
	v_pk_add_f32 v[180:181], v[48:49], v[180:181]              // 00000000E9A4: D3B240B4 18036930
	v_pk_add_f32 v[180:181], v[50:51], v[180:181]              // 00000000E9AC: D3B240B4 18036932
	v_add_f32_e32 v180, v181, v180                             // 00000000E9B4: 036969B5
	s_waitcnt lgkmcnt(0)                                       // 00000000E9B8: BF8CC07F
	v_sub_f32_e32 v182, v182, v164                             // 00000000E9BC: 056D49B6
	v_sub_f32_e32 v183, v183, v165                             // 00000000E9C0: 056F4BB7
	v_sub_f32_e32 v184, v184, v166                             // 00000000E9C4: 05714DB8
	v_mul_f32_e32 v182, s46, v182                              // 00000000E9C8: 0B6D6C2E
	v_mul_f32_e32 v183, s46, v183                              // 00000000E9CC: 0B6F6E2E
	v_mul_f32_e32 v184, s46, v184                              // 00000000E9D0: 0B71702E
	v_exp_f32_e32 v182, v182                                   // 00000000E9D4: 7F6C41B6
	v_exp_f32_e32 v183, v183                                   // 00000000E9D8: 7F6E41B7
	v_exp_f32_e32 v184, v184                                   // 00000000E9DC: 7F7041B8
	v_mul_f32_e32 v182, v157, v182                             // 00000000E9E0: 0B6D6D9D
	v_mul_f32_e32 v183, v157, v183                             // 00000000E9E4: 0B6F6F9D
	v_mul_f32_e32 v184, v157, v184                             // 00000000E9E8: 0B71719D
	v_add_f32_e32 v182, 0x3089705f, v182                       // 00000000E9EC: 036D6CFF 3089705F
	v_add_f32_e32 v183, 0x3089705f, v183                       // 00000000E9F4: 036F6EFF 3089705F
	v_add_f32_e32 v184, 0x3089705f, v184                       // 00000000E9FC: 037170FF 3089705F
	v_rcp_f32_e32 v182, v182                                   // 00000000EA04: 7F6C45B6
	v_rcp_f32_e32 v183, v183                                   // 00000000EA08: 7F6E45B7
	v_rcp_f32_e32 v184, v184                                   // 00000000EA0C: 7F7045B8
	v_mul_f32_e32 v182, 0x43700000, v182                       // 00000000EA10: 0B6D6CFF 43700000
	v_mul_f32_e32 v183, 0x43700000, v183                       // 00000000EA18: 0B6F6EFF 43700000
	v_mul_f32_e32 v184, 0x43700000, v184                       // 00000000EA20: 0B7170FF 43700000
	v_mov_b32_e32 v186, v184                                   // 00000000EA28: 7F7403B8
	v_mov_b32_e32 v187, v184                                   // 00000000EA2C: 7F7603B8
	v_mov_b32_e32 v184, v183                                   // 00000000EA30: 7F7003B7
	v_mov_b32_e32 v185, v183                                   // 00000000EA34: 7F7203B7
	v_mov_b32_e32 v183, v182                                   // 00000000EA38: 7F6E03B6
	v_pk_mul_f32 v[4:5], v[182:183], v[52:53]                  // 00000000EA3C: D3B14004 180269B6
	v_pk_mul_f32 v[6:7], v[182:183], v[54:55]                  // 00000000EA44: D3B14006 18026DB6
	v_pk_mul_f32 v[8:9], v[182:183], v[56:57]                  // 00000000EA4C: D3B14008 180271B6
	v_pk_mul_f32 v[10:11], v[182:183], v[58:59]                // 00000000EA54: D3B1400A 180275B6
	v_pk_mul_f32 v[12:13], v[182:183], v[60:61]                // 00000000EA5C: D3B1400C 180279B6
	v_pk_mul_f32 v[14:15], v[182:183], v[62:63]                // 00000000EA64: D3B1400E 18027DB6
	v_pk_mul_f32 v[16:17], v[182:183], v[64:65]                // 00000000EA6C: D3B14010 180281B6
	v_pk_mul_f32 v[18:19], v[182:183], v[66:67]                // 00000000EA74: D3B14012 180285B6
	v_pk_mul_f32 v[20:21], v[184:185], v[68:69]                // 00000000EA7C: D3B14014 180289B8
	v_pk_mul_f32 v[22:23], v[184:185], v[70:71]                // 00000000EA84: D3B14016 18028DB8
	v_pk_mul_f32 v[24:25], v[184:185], v[72:73]                // 00000000EA8C: D3B14018 180291B8
	v_pk_mul_f32 v[26:27], v[184:185], v[74:75]                // 00000000EA94: D3B1401A 180295B8
	v_pk_mul_f32 v[28:29], v[184:185], v[76:77]                // 00000000EA9C: D3B1401C 180299B8
	v_pk_mul_f32 v[30:31], v[184:185], v[78:79]                // 00000000EAA4: D3B1401E 18029DB8
	v_pk_mul_f32 v[32:33], v[184:185], v[80:81]                // 00000000EAAC: D3B14020 1802A1B8
	v_pk_mul_f32 v[34:35], v[184:185], v[82:83]                // 00000000EAB4: D3B14022 1802A5B8
	v_pk_mul_f32 v[36:37], v[186:187], v[84:85]                // 00000000EABC: D3B14024 1802A9BA
	v_pk_mul_f32 v[38:39], v[186:187], v[86:87]                // 00000000EAC4: D3B14026 1802ADBA
	v_pk_mul_f32 v[40:41], v[186:187], v[88:89]                // 00000000EACC: D3B14028 1802B1BA
	v_pk_mul_f32 v[42:43], v[186:187], v[90:91]                // 00000000EAD4: D3B1402A 1802B5BA
	v_pk_mul_f32 v[44:45], v[186:187], v[92:93]                // 00000000EADC: D3B1402C 1802B9BA
	v_pk_mul_f32 v[46:47], v[186:187], v[94:95]                // 00000000EAE4: D3B1402E 1802BDBA
	v_pk_mul_f32 v[48:49], v[186:187], v[96:97]                // 00000000EAEC: D3B14030 1802C1BA
	v_pk_mul_f32 v[50:51], v[186:187], v[98:99]                // 00000000EAF4: D3B14032 1802C5BA
	v_cvt_pk_fp8_f32 v4, v4, v5                                // 00000000EAFC: D2A20004 00020B04
	v_cvt_pk_fp8_f32 v4, v6, v7 op_sel:[0,0,1]                 // 00000000EB04: D2A24004 00020F06
	v_cvt_pk_fp8_f32 v5, v8, v9                                // 00000000EB0C: D2A20005 00021308
	v_cvt_pk_fp8_f32 v5, v10, v11 op_sel:[0,0,1]               // 00000000EB14: D2A24005 0002170A
	v_cvt_pk_fp8_f32 v6, v12, v13                              // 00000000EB1C: D2A20006 00021B0C
	v_cvt_pk_fp8_f32 v6, v14, v15 op_sel:[0,0,1]               // 00000000EB24: D2A24006 00021F0E
	v_cvt_pk_fp8_f32 v7, v16, v17                              // 00000000EB2C: D2A20007 00022310
	v_cvt_pk_fp8_f32 v7, v18, v19 op_sel:[0,0,1]               // 00000000EB34: D2A24007 00022712
	v_cvt_pk_fp8_f32 v8, v20, v21                              // 00000000EB3C: D2A20008 00022B14
	v_cvt_pk_fp8_f32 v8, v22, v23 op_sel:[0,0,1]               // 00000000EB44: D2A24008 00022F16
	v_cvt_pk_fp8_f32 v9, v24, v25                              // 00000000EB4C: D2A20009 00023318
	v_cvt_pk_fp8_f32 v9, v26, v27 op_sel:[0,0,1]               // 00000000EB54: D2A24009 0002371A
	v_cvt_pk_fp8_f32 v10, v28, v29                             // 00000000EB5C: D2A2000A 00023B1C
	v_cvt_pk_fp8_f32 v10, v30, v31 op_sel:[0,0,1]              // 00000000EB64: D2A2400A 00023F1E
	v_cvt_pk_fp8_f32 v11, v32, v33                             // 00000000EB6C: D2A2000B 00024320
	v_cvt_pk_fp8_f32 v11, v34, v35 op_sel:[0,0,1]              // 00000000EB74: D2A2400B 00024722
	v_cvt_pk_fp8_f32 v12, v36, v37                             // 00000000EB7C: D2A2000C 00024B24
	v_cvt_pk_fp8_f32 v12, v38, v39 op_sel:[0,0,1]              // 00000000EB84: D2A2400C 00024F26
	v_cvt_pk_fp8_f32 v13, v40, v41                             // 00000000EB8C: D2A2000D 00025328
	v_cvt_pk_fp8_f32 v13, v42, v43 op_sel:[0,0,1]              // 00000000EB94: D2A2400D 0002572A
	v_cvt_pk_fp8_f32 v14, v44, v45                             // 00000000EB9C: D2A2000E 00025B2C
	v_cvt_pk_fp8_f32 v14, v46, v47 op_sel:[0,0,1]              // 00000000EBA4: D2A2400E 00025F2E
	v_cvt_pk_fp8_f32 v15, v48, v49                             // 00000000EBAC: D2A2000F 00026330
	v_cvt_pk_fp8_f32 v15, v50, v51 op_sel:[0,0,1]              // 00000000EBB4: D2A2400F 00026732
	ds_write_b32 v251, v4 offset:8192                          // 00000000EBBC: D81A2000 000004FB
	ds_write_b32 v251, v5 offset:9216                          // 00000000EBC4: D81A2400 000005FB
	ds_write_b32 v251, v6 offset:10240                         // 00000000EBCC: D81A2800 000006FB
	ds_write_b32 v251, v7 offset:11264                         // 00000000EBD4: D81A2C00 000007FB
	ds_write_b32 v251, v8 offset:12288                         // 00000000EBDC: D81A3000 000008FB
	ds_write_b32 v251, v9 offset:13312                         // 00000000EBE4: D81A3400 000009FB
	ds_write_b32 v251, v10 offset:14336                        // 00000000EBEC: D81A3800 00000AFB
	ds_write_b32 v251, v11 offset:15360                        // 00000000EBF4: D81A3C00 00000BFB
	ds_write_b32 v251, v12 offset:16384                        // 00000000EBFC: D81A4000 00000CFB
	ds_write_b32 v251, v13 offset:17408                        // 00000000EC04: D81A4400 00000DFB
	ds_write_b32 v251, v14 offset:18432                        // 00000000EC0C: D81A4800 00000EFB
	ds_write_b32 v251, v15 offset:19456                        // 00000000EC14: D81A4C00 00000FFB
	v_rcp_f32_e32 v158, v182                                   // 00000000EC1C: 7F3C45B6
	v_rcp_f32_e32 v160, v184                                   // 00000000EC20: 7F4045B8
	v_rcp_f32_e32 v162, v186                                   // 00000000EC24: 7F4445BA
	v_mov_b32_e32 v159, v158                                   // 00000000EC28: 7F3E039E
	v_mov_b32_e32 v161, v160                                   // 00000000EC2C: 7F4203A0
	v_mov_b32_e32 v163, v162                                   // 00000000EC30: 7F4603A2
	v_pk_add_f32 v[124:125], v[124:125], v[100:101]            // 00000000EC34: D3B2407C 1802C97C
	v_pk_add_f32 v[126:127], v[126:127], v[102:103]            // 00000000EC3C: D3B2407E 1802CD7E
	v_pk_add_f32 v[128:129], v[128:129], v[104:105]            // 00000000EC44: D3B24080 1802D180
	v_pk_add_f32 v[130:131], v[130:131], v[106:107]            // 00000000EC4C: D3B24082 1802D582
	v_pk_add_f32 v[132:133], v[132:133], v[108:109]            // 00000000EC54: D3B24084 1802D984
	v_pk_add_f32 v[134:135], v[134:135], v[110:111]            // 00000000EC5C: D3B24086 1802DD86
	v_pk_add_f32 v[136:137], v[136:137], v[112:113]            // 00000000EC64: D3B24088 1802E188
	v_pk_add_f32 v[138:139], v[138:139], v[114:115]            // 00000000EC6C: D3B2408A 1802E58A
	v_pk_add_f32 v[140:141], v[140:141], v[116:117]            // 00000000EC74: D3B2408C 1802E98C
	v_pk_add_f32 v[142:143], v[142:143], v[118:119]            // 00000000EC7C: D3B2408E 1802ED8E
	v_pk_add_f32 v[144:145], v[144:145], v[120:121]            // 00000000EC84: D3B24090 1802F190
	v_pk_add_f32 v[146:147], v[146:147], v[122:123]            // 00000000EC8C: D3B24092 1802F592
	s_waitcnt lgkmcnt(0)                                       // 00000000EC94: BF8CC07F
	s_barrier                                                  // 00000000EC98: BF8A0000
	ds_read_b128 v[4:7], v252 offset:8192                      // 00000000EC9C: D9FE2000 040000FC
	ds_read_b128 v[8:11], v252 offset:9216                     // 00000000ECA4: D9FE2400 080000FC
	ds_read_b128 v[12:15], v252 offset:10240                   // 00000000ECAC: D9FE2800 0C0000FC
	ds_read_b128 v[16:19], v252 offset:11264                   // 00000000ECB4: D9FE2C00 100000FC
	ds_read_b128 v[20:23], v252 offset:12288                   // 00000000ECBC: D9FE3000 140000FC
	ds_read_b128 v[24:27], v252 offset:13312                   // 00000000ECC4: D9FE3400 180000FC
	ds_read_b128 v[28:31], v252 offset:14336                   // 00000000ECCC: D9FE3800 1C0000FC
	ds_read_b128 v[32:35], v252 offset:15360                   // 00000000ECD4: D9FE3C00 200000FC
	ds_read_b128 v[36:39], v252 offset:16384                   // 00000000ECDC: D9FE4000 240000FC
	ds_read_b128 v[40:43], v252 offset:17408                   // 00000000ECE4: D9FE4400 280000FC
	ds_read_b128 v[44:47], v252 offset:18432                   // 00000000ECEC: D9FE4800 2C0000FC
	ds_read_b128 v[48:51], v252 offset:19456                   // 00000000ECF4: D9FE4C00 300000FC
	s_waitcnt vmcnt(10)                                        // 00000000ECFC: BF8C0F7A
	v_lshrrev_b32_e32 v211, 4, v0                              // 00000000ED00: 21A60084
	v_lshlrev_b32_e32 v211, 4, v211                            // 00000000ED04: 25A7A684
	v_add_u32_e32 v204, s64, v211                              // 00000000ED08: 6999A640
	v_add_u32_e32 v204, 4, v204                                // 00000000ED0C: 69999884
	v_sub_i32 v204, v204, s62                                  // 00000000ED10: D29D00CC 00007DCC
	s_mov_b32 s54, 0                                           // 00000000ED18: BEB60080
	v_add_i32 v205, s54, v204                                  // 00000000ED1C: D29C00CD 00039836
	v_cmp_lt_i32_e64 vcc, v205, 4                              // 00000000ED24: D0C1006A 000109CD
	v_min_u32_e32 v205, 4, v205                                // 00000000ED2C: 1D9B9A84
	v_lshlrev_b32_e32 v205, 3, v205                            // 00000000ED30: 259B9A83
	v_lshrrev_b32_e64 v206, v205, -1                           // 00000000ED34: D11000CE 000183CD
	v_accvgpr_read_b32 v207, a120                              // 00000000ED3C: D3D840CF 18000178
	v_cndmask_b32_e32 v207, 0, v207, vcc                       // 00000000ED44: 019F9E80
	v_and_b32_e32 v207, v207, v206                             // 00000000ED48: 279F9DCF
	v_accvgpr_write_b32 a120, v207                             // 00000000ED4C: D3D94078 180001CF
	v_accvgpr_read_b32 v207, a136                              // 00000000ED54: D3D840CF 18000188
	v_cndmask_b32_e32 v207, 0, v207, vcc                       // 00000000ED5C: 019F9E80
	v_and_b32_e32 v207, v207, v206                             // 00000000ED60: 279F9DCF
	v_accvgpr_write_b32 a136, v207                             // 00000000ED64: D3D94088 180001CF
	s_mov_b32 s54, 4                                           // 00000000ED6C: BEB60084
	v_add_i32 v205, s54, v204                                  // 00000000ED70: D29C00CD 00039836
	v_cmp_lt_i32_e64 vcc, v205, 4                              // 00000000ED78: D0C1006A 000109CD
	v_min_u32_e32 v205, 4, v205                                // 00000000ED80: 1D9B9A84
	v_lshlrev_b32_e32 v205, 3, v205                            // 00000000ED84: 259B9A83
	v_lshrrev_b32_e64 v206, v205, -1                           // 00000000ED88: D11000CE 000183CD
	v_accvgpr_read_b32 v207, a121                              // 00000000ED90: D3D840CF 18000179
	v_cndmask_b32_e32 v207, 0, v207, vcc                       // 00000000ED98: 019F9E80
	v_and_b32_e32 v207, v207, v206                             // 00000000ED9C: 279F9DCF
	v_accvgpr_write_b32 a121, v207                             // 00000000EDA0: D3D94079 180001CF
	v_accvgpr_read_b32 v207, a137                              // 00000000EDA8: D3D840CF 18000189
	v_cndmask_b32_e32 v207, 0, v207, vcc                       // 00000000EDB0: 019F9E80
	v_and_b32_e32 v207, v207, v206                             // 00000000EDB4: 279F9DCF
	v_accvgpr_write_b32 a137, v207                             // 00000000EDB8: D3D94089 180001CF
	s_mov_b32 s54, 8                                           // 00000000EDC0: BEB60088
	v_add_i32 v205, s54, v204                                  // 00000000EDC4: D29C00CD 00039836
	v_cmp_lt_i32_e64 vcc, v205, 4                              // 00000000EDCC: D0C1006A 000109CD
	v_min_u32_e32 v205, 4, v205                                // 00000000EDD4: 1D9B9A84
	v_lshlrev_b32_e32 v205, 3, v205                            // 00000000EDD8: 259B9A83
	v_lshrrev_b32_e64 v206, v205, -1                           // 00000000EDDC: D11000CE 000183CD
	v_accvgpr_read_b32 v207, a122                              // 00000000EDE4: D3D840CF 1800017A
	v_cndmask_b32_e32 v207, 0, v207, vcc                       // 00000000EDEC: 019F9E80
	v_and_b32_e32 v207, v207, v206                             // 00000000EDF0: 279F9DCF
	v_accvgpr_write_b32 a122, v207                             // 00000000EDF4: D3D9407A 180001CF
	v_accvgpr_read_b32 v207, a138                              // 00000000EDFC: D3D840CF 1800018A
	v_cndmask_b32_e32 v207, 0, v207, vcc                       // 00000000EE04: 019F9E80
	v_and_b32_e32 v207, v207, v206                             // 00000000EE08: 279F9DCF
	v_accvgpr_write_b32 a138, v207                             // 00000000EE0C: D3D9408A 180001CF
	s_mov_b32 s54, 12                                          // 00000000EE14: BEB6008C
	v_add_i32 v205, s54, v204                                  // 00000000EE18: D29C00CD 00039836
	v_cmp_lt_i32_e64 vcc, v205, 4                              // 00000000EE20: D0C1006A 000109CD
	v_min_u32_e32 v205, 4, v205                                // 00000000EE28: 1D9B9A84
	v_lshlrev_b32_e32 v205, 3, v205                            // 00000000EE2C: 259B9A83
	v_lshrrev_b32_e64 v206, v205, -1                           // 00000000EE30: D11000CE 000183CD
	v_accvgpr_read_b32 v207, a123                              // 00000000EE38: D3D840CF 1800017B
	v_cndmask_b32_e32 v207, 0, v207, vcc                       // 00000000EE40: 019F9E80
	v_and_b32_e32 v207, v207, v206                             // 00000000EE44: 279F9DCF
	v_accvgpr_write_b32 a123, v207                             // 00000000EE48: D3D9407B 180001CF
	v_accvgpr_read_b32 v207, a139                              // 00000000EE50: D3D840CF 1800018B
	v_cndmask_b32_e32 v207, 0, v207, vcc                       // 00000000EE58: 019F9E80
	v_and_b32_e32 v207, v207, v206                             // 00000000EE5C: 279F9DCF
	v_accvgpr_write_b32 a139, v207                             // 00000000EE60: D3D9408B 180001CF
	s_mov_b32 s54, 64                                          // 00000000EE68: BEB600C0
	v_add_i32 v205, s54, v204                                  // 00000000EE6C: D29C00CD 00039836
	v_cmp_lt_i32_e64 vcc, v205, 4                              // 00000000EE74: D0C1006A 000109CD
	v_min_u32_e32 v205, 4, v205                                // 00000000EE7C: 1D9B9A84
	v_lshlrev_b32_e32 v205, 3, v205                            // 00000000EE80: 259B9A83
	v_lshrrev_b32_e64 v206, v205, -1                           // 00000000EE84: D11000CE 000183CD
	v_accvgpr_read_b32 v207, a124                              // 00000000EE8C: D3D840CF 1800017C
	v_cndmask_b32_e32 v207, 0, v207, vcc                       // 00000000EE94: 019F9E80
	v_and_b32_e32 v207, v207, v206                             // 00000000EE98: 279F9DCF
	v_accvgpr_write_b32 a124, v207                             // 00000000EE9C: D3D9407C 180001CF
	v_accvgpr_read_b32 v207, a140                              // 00000000EEA4: D3D840CF 1800018C
	v_cndmask_b32_e32 v207, 0, v207, vcc                       // 00000000EEAC: 019F9E80
	v_and_b32_e32 v207, v207, v206                             // 00000000EEB0: 279F9DCF
	v_accvgpr_write_b32 a140, v207                             // 00000000EEB4: D3D9408C 180001CF
	s_mov_b32 s54, 0x44                                        // 00000000EEBC: BEB600FF 00000044
	v_add_i32 v205, s54, v204                                  // 00000000EEC4: D29C00CD 00039836
	v_cmp_lt_i32_e64 vcc, v205, 4                              // 00000000EECC: D0C1006A 000109CD
	v_min_u32_e32 v205, 4, v205                                // 00000000EED4: 1D9B9A84
	v_lshlrev_b32_e32 v205, 3, v205                            // 00000000EED8: 259B9A83
	v_lshrrev_b32_e64 v206, v205, -1                           // 00000000EEDC: D11000CE 000183CD
	v_accvgpr_read_b32 v207, a125                              // 00000000EEE4: D3D840CF 1800017D
	v_cndmask_b32_e32 v207, 0, v207, vcc                       // 00000000EEEC: 019F9E80
	v_and_b32_e32 v207, v207, v206                             // 00000000EEF0: 279F9DCF
	v_accvgpr_write_b32 a125, v207                             // 00000000EEF4: D3D9407D 180001CF
	v_accvgpr_read_b32 v207, a141                              // 00000000EEFC: D3D840CF 1800018D
	v_cndmask_b32_e32 v207, 0, v207, vcc                       // 00000000EF04: 019F9E80
	v_and_b32_e32 v207, v207, v206                             // 00000000EF08: 279F9DCF
	v_accvgpr_write_b32 a141, v207                             // 00000000EF0C: D3D9408D 180001CF
	s_mov_b32 s54, 0x48                                        // 00000000EF14: BEB600FF 00000048
	v_add_i32 v205, s54, v204                                  // 00000000EF1C: D29C00CD 00039836
	v_cmp_lt_i32_e64 vcc, v205, 4                              // 00000000EF24: D0C1006A 000109CD
	v_min_u32_e32 v205, 4, v205                                // 00000000EF2C: 1D9B9A84
	v_lshlrev_b32_e32 v205, 3, v205                            // 00000000EF30: 259B9A83
	v_lshrrev_b32_e64 v206, v205, -1                           // 00000000EF34: D11000CE 000183CD
	v_accvgpr_read_b32 v207, a126                              // 00000000EF3C: D3D840CF 1800017E
	v_cndmask_b32_e32 v207, 0, v207, vcc                       // 00000000EF44: 019F9E80
	v_and_b32_e32 v207, v207, v206                             // 00000000EF48: 279F9DCF
	v_accvgpr_write_b32 a126, v207                             // 00000000EF4C: D3D9407E 180001CF
	v_accvgpr_read_b32 v207, a142                              // 00000000EF54: D3D840CF 1800018E
	v_cndmask_b32_e32 v207, 0, v207, vcc                       // 00000000EF5C: 019F9E80
	v_and_b32_e32 v207, v207, v206                             // 00000000EF60: 279F9DCF
	v_accvgpr_write_b32 a142, v207                             // 00000000EF64: D3D9408E 180001CF
	s_mov_b32 s54, 0x4c                                        // 00000000EF6C: BEB600FF 0000004C
	v_add_i32 v205, s54, v204                                  // 00000000EF74: D29C00CD 00039836
	v_cmp_lt_i32_e64 vcc, v205, 4                              // 00000000EF7C: D0C1006A 000109CD
	v_min_u32_e32 v205, 4, v205                                // 00000000EF84: 1D9B9A84
	v_lshlrev_b32_e32 v205, 3, v205                            // 00000000EF88: 259B9A83
	v_lshrrev_b32_e64 v206, v205, -1                           // 00000000EF8C: D11000CE 000183CD
	v_accvgpr_read_b32 v207, a127                              // 00000000EF94: D3D840CF 1800017F
	v_cndmask_b32_e32 v207, 0, v207, vcc                       // 00000000EF9C: 019F9E80
	v_and_b32_e32 v207, v207, v206                             // 00000000EFA0: 279F9DCF
	v_accvgpr_write_b32 a127, v207                             // 00000000EFA4: D3D9407F 180001CF
	v_accvgpr_read_b32 v207, a143                              // 00000000EFAC: D3D840CF 1800018F
	v_cndmask_b32_e32 v207, 0, v207, vcc                       // 00000000EFB4: 019F9E80
	v_and_b32_e32 v207, v207, v206                             // 00000000EFB8: 279F9DCF
	v_accvgpr_write_b32 a143, v207                             // 00000000EFBC: D3D9408F 180001CF
	s_mov_b32 s54, 0x80                                        // 00000000EFC4: BEB600FF 00000080
	v_add_i32 v205, s54, v204                                  // 00000000EFCC: D29C00CD 00039836
	v_cmp_lt_i32_e64 vcc, v205, 4                              // 00000000EFD4: D0C1006A 000109CD
	v_min_u32_e32 v205, 4, v205                                // 00000000EFDC: 1D9B9A84
	v_lshlrev_b32_e32 v205, 3, v205                            // 00000000EFE0: 259B9A83
	v_lshrrev_b32_e64 v206, v205, -1                           // 00000000EFE4: D11000CE 000183CD
	v_accvgpr_read_b32 v207, a128                              // 00000000EFEC: D3D840CF 18000180
	v_cndmask_b32_e32 v207, 0, v207, vcc                       // 00000000EFF4: 019F9E80
	v_and_b32_e32 v207, v207, v206                             // 00000000EFF8: 279F9DCF
	v_accvgpr_write_b32 a128, v207                             // 00000000EFFC: D3D94080 180001CF
	v_accvgpr_read_b32 v207, a144                              // 00000000F004: D3D840CF 18000190
	v_cndmask_b32_e32 v207, 0, v207, vcc                       // 00000000F00C: 019F9E80
	v_and_b32_e32 v207, v207, v206                             // 00000000F010: 279F9DCF
	v_accvgpr_write_b32 a144, v207                             // 00000000F014: D3D94090 180001CF
	s_mov_b32 s54, 0x84                                        // 00000000F01C: BEB600FF 00000084
	v_add_i32 v205, s54, v204                                  // 00000000F024: D29C00CD 00039836
	v_cmp_lt_i32_e64 vcc, v205, 4                              // 00000000F02C: D0C1006A 000109CD
	v_min_u32_e32 v205, 4, v205                                // 00000000F034: 1D9B9A84
	v_lshlrev_b32_e32 v205, 3, v205                            // 00000000F038: 259B9A83
	v_lshrrev_b32_e64 v206, v205, -1                           // 00000000F03C: D11000CE 000183CD
	v_accvgpr_read_b32 v207, a129                              // 00000000F044: D3D840CF 18000181
	v_cndmask_b32_e32 v207, 0, v207, vcc                       // 00000000F04C: 019F9E80
	v_and_b32_e32 v207, v207, v206                             // 00000000F050: 279F9DCF
	v_accvgpr_write_b32 a129, v207                             // 00000000F054: D3D94081 180001CF
	v_accvgpr_read_b32 v207, a145                              // 00000000F05C: D3D840CF 18000191
	v_cndmask_b32_e32 v207, 0, v207, vcc                       // 00000000F064: 019F9E80
	v_and_b32_e32 v207, v207, v206                             // 00000000F068: 279F9DCF
	v_accvgpr_write_b32 a145, v207                             // 00000000F06C: D3D94091 180001CF
	s_mov_b32 s54, 0x88                                        // 00000000F074: BEB600FF 00000088
	v_add_i32 v205, s54, v204                                  // 00000000F07C: D29C00CD 00039836
	v_cmp_lt_i32_e64 vcc, v205, 4                              // 00000000F084: D0C1006A 000109CD
	v_min_u32_e32 v205, 4, v205                                // 00000000F08C: 1D9B9A84
	v_lshlrev_b32_e32 v205, 3, v205                            // 00000000F090: 259B9A83
	v_lshrrev_b32_e64 v206, v205, -1                           // 00000000F094: D11000CE 000183CD
	v_accvgpr_read_b32 v207, a130                              // 00000000F09C: D3D840CF 18000182
	v_cndmask_b32_e32 v207, 0, v207, vcc                       // 00000000F0A4: 019F9E80
	v_and_b32_e32 v207, v207, v206                             // 00000000F0A8: 279F9DCF
	v_accvgpr_write_b32 a130, v207                             // 00000000F0AC: D3D94082 180001CF
	v_accvgpr_read_b32 v207, a146                              // 00000000F0B4: D3D840CF 18000192
	v_cndmask_b32_e32 v207, 0, v207, vcc                       // 00000000F0BC: 019F9E80
	v_and_b32_e32 v207, v207, v206                             // 00000000F0C0: 279F9DCF
	v_accvgpr_write_b32 a146, v207                             // 00000000F0C4: D3D94092 180001CF
	s_mov_b32 s54, 0x8c                                        // 00000000F0CC: BEB600FF 0000008C
	v_add_i32 v205, s54, v204                                  // 00000000F0D4: D29C00CD 00039836
	v_cmp_lt_i32_e64 vcc, v205, 4                              // 00000000F0DC: D0C1006A 000109CD
	v_min_u32_e32 v205, 4, v205                                // 00000000F0E4: 1D9B9A84
	v_lshlrev_b32_e32 v205, 3, v205                            // 00000000F0E8: 259B9A83
	v_lshrrev_b32_e64 v206, v205, -1                           // 00000000F0EC: D11000CE 000183CD
	v_accvgpr_read_b32 v207, a131                              // 00000000F0F4: D3D840CF 18000183
	v_cndmask_b32_e32 v207, 0, v207, vcc                       // 00000000F0FC: 019F9E80
	v_and_b32_e32 v207, v207, v206                             // 00000000F100: 279F9DCF
	v_accvgpr_write_b32 a131, v207                             // 00000000F104: D3D94083 180001CF
	v_accvgpr_read_b32 v207, a147                              // 00000000F10C: D3D840CF 18000193
	v_cndmask_b32_e32 v207, 0, v207, vcc                       // 00000000F114: 019F9E80
	v_and_b32_e32 v207, v207, v206                             // 00000000F118: 279F9DCF
	v_accvgpr_write_b32 a147, v207                             // 00000000F11C: D3D94093 180001CF
	s_mov_b32 s54, 0xc0                                        // 00000000F124: BEB600FF 000000C0
	v_add_i32 v205, s54, v204                                  // 00000000F12C: D29C00CD 00039836
	v_cmp_lt_i32_e64 vcc, v205, 4                              // 00000000F134: D0C1006A 000109CD
	v_min_u32_e32 v205, 4, v205                                // 00000000F13C: 1D9B9A84
	v_lshlrev_b32_e32 v205, 3, v205                            // 00000000F140: 259B9A83
	v_lshrrev_b32_e64 v206, v205, -1                           // 00000000F144: D11000CE 000183CD
	v_accvgpr_read_b32 v207, a132                              // 00000000F14C: D3D840CF 18000184
	v_cndmask_b32_e32 v207, 0, v207, vcc                       // 00000000F154: 019F9E80
	v_and_b32_e32 v207, v207, v206                             // 00000000F158: 279F9DCF
	v_accvgpr_write_b32 a132, v207                             // 00000000F15C: D3D94084 180001CF
	v_accvgpr_read_b32 v207, a148                              // 00000000F164: D3D840CF 18000194
	v_cndmask_b32_e32 v207, 0, v207, vcc                       // 00000000F16C: 019F9E80
	v_and_b32_e32 v207, v207, v206                             // 00000000F170: 279F9DCF
	v_accvgpr_write_b32 a148, v207                             // 00000000F174: D3D94094 180001CF
	s_mov_b32 s54, 0xc4                                        // 00000000F17C: BEB600FF 000000C4
	v_add_i32 v205, s54, v204                                  // 00000000F184: D29C00CD 00039836
	v_cmp_lt_i32_e64 vcc, v205, 4                              // 00000000F18C: D0C1006A 000109CD
	v_min_u32_e32 v205, 4, v205                                // 00000000F194: 1D9B9A84
	v_lshlrev_b32_e32 v205, 3, v205                            // 00000000F198: 259B9A83
	v_lshrrev_b32_e64 v206, v205, -1                           // 00000000F19C: D11000CE 000183CD
	v_accvgpr_read_b32 v207, a133                              // 00000000F1A4: D3D840CF 18000185
	v_cndmask_b32_e32 v207, 0, v207, vcc                       // 00000000F1AC: 019F9E80
	v_and_b32_e32 v207, v207, v206                             // 00000000F1B0: 279F9DCF
	v_accvgpr_write_b32 a133, v207                             // 00000000F1B4: D3D94085 180001CF
	v_accvgpr_read_b32 v207, a149                              // 00000000F1BC: D3D840CF 18000195
	v_cndmask_b32_e32 v207, 0, v207, vcc                       // 00000000F1C4: 019F9E80
	v_and_b32_e32 v207, v207, v206                             // 00000000F1C8: 279F9DCF
	v_accvgpr_write_b32 a149, v207                             // 00000000F1CC: D3D94095 180001CF
	s_mov_b32 s54, 0xc8                                        // 00000000F1D4: BEB600FF 000000C8
	v_add_i32 v205, s54, v204                                  // 00000000F1DC: D29C00CD 00039836
	v_cmp_lt_i32_e64 vcc, v205, 4                              // 00000000F1E4: D0C1006A 000109CD
	v_min_u32_e32 v205, 4, v205                                // 00000000F1EC: 1D9B9A84
	v_lshlrev_b32_e32 v205, 3, v205                            // 00000000F1F0: 259B9A83
	v_lshrrev_b32_e64 v206, v205, -1                           // 00000000F1F4: D11000CE 000183CD
	v_accvgpr_read_b32 v207, a134                              // 00000000F1FC: D3D840CF 18000186
	v_cndmask_b32_e32 v207, 0, v207, vcc                       // 00000000F204: 019F9E80
	v_and_b32_e32 v207, v207, v206                             // 00000000F208: 279F9DCF
	v_accvgpr_write_b32 a134, v207                             // 00000000F20C: D3D94086 180001CF
	v_accvgpr_read_b32 v207, a150                              // 00000000F214: D3D840CF 18000196
	v_cndmask_b32_e32 v207, 0, v207, vcc                       // 00000000F21C: 019F9E80
	v_and_b32_e32 v207, v207, v206                             // 00000000F220: 279F9DCF
	v_accvgpr_write_b32 a150, v207                             // 00000000F224: D3D94096 180001CF
	s_mov_b32 s54, 0xcc                                        // 00000000F22C: BEB600FF 000000CC
	v_add_i32 v205, s54, v204                                  // 00000000F234: D29C00CD 00039836
	v_cmp_lt_i32_e64 vcc, v205, 4                              // 00000000F23C: D0C1006A 000109CD
	v_min_u32_e32 v205, 4, v205                                // 00000000F244: 1D9B9A84
	v_lshlrev_b32_e32 v205, 3, v205                            // 00000000F248: 259B9A83
	v_lshrrev_b32_e64 v206, v205, -1                           // 00000000F24C: D11000CE 000183CD
	v_accvgpr_read_b32 v207, a135                              // 00000000F254: D3D840CF 18000187
	v_cndmask_b32_e32 v207, 0, v207, vcc                       // 00000000F25C: 019F9E80
	v_and_b32_e32 v207, v207, v206                             // 00000000F260: 279F9DCF
	v_accvgpr_write_b32 a135, v207                             // 00000000F264: D3D94087 180001CF
	v_accvgpr_read_b32 v207, a151                              // 00000000F26C: D3D840CF 18000197
	v_cndmask_b32_e32 v207, 0, v207, vcc                       // 00000000F274: 019F9E80
	v_and_b32_e32 v207, v207, v206                             // 00000000F278: 279F9DCF
	v_accvgpr_write_b32 a151, v207                             // 00000000F27C: D3D94097 180001CF
	s_waitcnt lgkmcnt(11)                                      // 00000000F284: BF8CCB7F
	v_mfma_f32_16x16x32_fp8_fp8 v[100:103], a[120:121], v[4:5], 0// 00000000F288: D3F30064 0A020978
	v_mfma_f32_16x16x32_fp8_fp8 v[104:107], a[136:137], v[4:5], 0// 00000000F290: D3F30068 0A020988
	v_mfma_f32_16x16x32_fp8_fp8 v[100:103], a[122:123], v[6:7], v[100:103]// 00000000F298: D3F30064 0D920D7A
	buffer_load_dwordx4 a[88:91], v231, s[16:19], 0 offen      // 00000000F2A0: E05C1000 808458E7
	v_mfma_f32_16x16x32_fp8_fp8 v[104:107], a[138:139], v[6:7], v[104:107]// 00000000F2A8: D3F30068 0DA20D8A
	s_waitcnt lgkmcnt(10)                                      // 00000000F2B0: BF8CCA7F
	v_mfma_f32_16x16x32_fp8_fp8 v[100:103], a[124:125], v[8:9], v[100:103]// 00000000F2B4: D3F30064 0D92117C
	v_mfma_f32_16x16x32_fp8_fp8 v[104:107], a[140:141], v[8:9], v[104:107]// 00000000F2BC: D3F30068 0DA2118C
	v_mfma_f32_16x16x32_fp8_fp8 v[100:103], a[126:127], v[10:11], v[100:103]// 00000000F2C4: D3F30064 0D92157E
	buffer_load_dwordx4 a[92:95], v232, s[16:19], 0 offen      // 00000000F2CC: E05C1000 80845CE8
	v_mfma_f32_16x16x32_fp8_fp8 v[104:107], a[142:143], v[10:11], v[104:107]// 00000000F2D4: D3F30068 0DA2158E
	s_waitcnt lgkmcnt(9)                                       // 00000000F2DC: BF8CC97F
	v_mfma_f32_16x16x32_fp8_fp8 v[100:103], a[128:129], v[12:13], v[100:103]// 00000000F2E0: D3F30064 0D921980
	v_mfma_f32_16x16x32_fp8_fp8 v[104:107], a[144:145], v[12:13], v[104:107]// 00000000F2E8: D3F30068 0DA21990
	v_mfma_f32_16x16x32_fp8_fp8 v[100:103], a[130:131], v[14:15], v[100:103]// 00000000F2F0: D3F30064 0D921D82
	buffer_load_dwordx4 a[96:99], v233, s[16:19], 0 offen      // 00000000F2F8: E05C1000 808460E9
	v_mfma_f32_16x16x32_fp8_fp8 v[104:107], a[146:147], v[14:15], v[104:107]// 00000000F300: D3F30068 0DA21D92
	s_waitcnt lgkmcnt(8)                                       // 00000000F308: BF8CC87F
	v_mfma_f32_16x16x32_fp8_fp8 v[100:103], a[132:133], v[16:17], v[100:103]// 00000000F30C: D3F30064 0D922184
	v_mfma_f32_16x16x32_fp8_fp8 v[104:107], a[148:149], v[16:17], v[104:107]// 00000000F314: D3F30068 0DA22194
	v_mfma_f32_16x16x32_fp8_fp8 v[100:103], a[134:135], v[18:19], v[100:103]// 00000000F31C: D3F30064 0D922586
	buffer_load_dwordx4 a[100:103], v234, s[16:19], 0 offen    // 00000000F324: E05C1000 808464EA
	v_mfma_f32_16x16x32_fp8_fp8 v[104:107], a[150:151], v[18:19], v[104:107]// 00000000F32C: D3F30068 0DA22596
	s_waitcnt lgkmcnt(7)                                       // 00000000F334: BF8CC77F
	v_mfma_f32_16x16x32_fp8_fp8 v[108:111], a[120:121], v[20:21], 0// 00000000F338: D3F3006C 0A022978
	v_mfma_f32_16x16x32_fp8_fp8 v[112:115], a[136:137], v[20:21], 0// 00000000F340: D3F30070 0A022988
	v_mfma_f32_16x16x32_fp8_fp8 v[108:111], a[122:123], v[22:23], v[108:111]// 00000000F348: D3F3006C 0DB22D7A
	buffer_load_dwordx4 a[104:107], v231, s[16:19], 0 offen offset:1024// 00000000F350: E05C1400 808468E7
	v_mfma_f32_16x16x32_fp8_fp8 v[112:115], a[138:139], v[22:23], v[112:115]// 00000000F358: D3F30070 0DC22D8A
	s_waitcnt lgkmcnt(6)                                       // 00000000F360: BF8CC67F
	v_mfma_f32_16x16x32_fp8_fp8 v[108:111], a[124:125], v[24:25], v[108:111]// 00000000F364: D3F3006C 0DB2317C
	v_mfma_f32_16x16x32_fp8_fp8 v[112:115], a[140:141], v[24:25], v[112:115]// 00000000F36C: D3F30070 0DC2318C
	v_mfma_f32_16x16x32_fp8_fp8 v[108:111], a[126:127], v[26:27], v[108:111]// 00000000F374: D3F3006C 0DB2357E
	buffer_load_dwordx4 a[108:111], v232, s[16:19], 0 offen offset:1024// 00000000F37C: E05C1400 80846CE8
	v_mfma_f32_16x16x32_fp8_fp8 v[112:115], a[142:143], v[26:27], v[112:115]// 00000000F384: D3F30070 0DC2358E
	s_waitcnt lgkmcnt(5)                                       // 00000000F38C: BF8CC57F
	v_mfma_f32_16x16x32_fp8_fp8 v[108:111], a[128:129], v[28:29], v[108:111]// 00000000F390: D3F3006C 0DB23980
	v_mfma_f32_16x16x32_fp8_fp8 v[112:115], a[144:145], v[28:29], v[112:115]// 00000000F398: D3F30070 0DC23990
	v_mfma_f32_16x16x32_fp8_fp8 v[108:111], a[130:131], v[30:31], v[108:111]// 00000000F3A0: D3F3006C 0DB23D82
	buffer_load_dwordx4 a[112:115], v233, s[16:19], 0 offen offset:1024// 00000000F3A8: E05C1400 808470E9
	v_mfma_f32_16x16x32_fp8_fp8 v[112:115], a[146:147], v[30:31], v[112:115]// 00000000F3B0: D3F30070 0DC23D92
	s_waitcnt lgkmcnt(4)                                       // 00000000F3B8: BF8CC47F
	v_mfma_f32_16x16x32_fp8_fp8 v[108:111], a[132:133], v[32:33], v[108:111]// 00000000F3BC: D3F3006C 0DB24184
	v_mfma_f32_16x16x32_fp8_fp8 v[112:115], a[148:149], v[32:33], v[112:115]// 00000000F3C4: D3F30070 0DC24194
	v_mfma_f32_16x16x32_fp8_fp8 v[108:111], a[134:135], v[34:35], v[108:111]// 00000000F3CC: D3F3006C 0DB24586
	buffer_load_dwordx4 a[116:119], v234, s[16:19], 0 offen offset:1024// 00000000F3D4: E05C1400 808474EA
	v_mfma_f32_16x16x32_fp8_fp8 v[112:115], a[150:151], v[34:35], v[112:115]// 00000000F3DC: D3F30070 0DC24596
	s_waitcnt lgkmcnt(3)                                       // 00000000F3E4: BF8CC37F
	v_mfma_f32_16x16x32_fp8_fp8 v[116:119], a[120:121], v[36:37], 0// 00000000F3E8: D3F30074 0A024978
	v_mfma_f32_16x16x32_fp8_fp8 v[120:123], a[136:137], v[36:37], 0// 00000000F3F0: D3F30078 0A024988
	v_mfma_f32_16x16x32_fp8_fp8 v[116:119], a[122:123], v[38:39], v[116:119]// 00000000F3F8: D3F30074 0DD24D7A
	v_mfma_f32_16x16x32_fp8_fp8 v[120:123], a[138:139], v[38:39], v[120:123]// 00000000F400: D3F30078 0DE24D8A
	s_waitcnt lgkmcnt(2)                                       // 00000000F408: BF8CC27F
	v_mfma_f32_16x16x32_fp8_fp8 v[116:119], a[124:125], v[40:41], v[116:119]// 00000000F40C: D3F30074 0DD2517C
	v_mfma_f32_16x16x32_fp8_fp8 v[120:123], a[140:141], v[40:41], v[120:123]// 00000000F414: D3F30078 0DE2518C
	v_mfma_f32_16x16x32_fp8_fp8 v[116:119], a[126:127], v[42:43], v[116:119]// 00000000F41C: D3F30074 0DD2557E
	v_mfma_f32_16x16x32_fp8_fp8 v[120:123], a[142:143], v[42:43], v[120:123]// 00000000F424: D3F30078 0DE2558E
	s_waitcnt lgkmcnt(1)                                       // 00000000F42C: BF8CC17F
	v_mfma_f32_16x16x32_fp8_fp8 v[116:119], a[128:129], v[44:45], v[116:119]// 00000000F430: D3F30074 0DD25980
	v_mfma_f32_16x16x32_fp8_fp8 v[120:123], a[144:145], v[44:45], v[120:123]// 00000000F438: D3F30078 0DE25990
	v_mfma_f32_16x16x32_fp8_fp8 v[116:119], a[130:131], v[46:47], v[116:119]// 00000000F440: D3F30074 0DD25D82
	v_mfma_f32_16x16x32_fp8_fp8 v[120:123], a[146:147], v[46:47], v[120:123]// 00000000F448: D3F30078 0DE25D92
	s_waitcnt lgkmcnt(0)                                       // 00000000F450: BF8CC07F
	v_mfma_f32_16x16x32_fp8_fp8 v[116:119], a[132:133], v[48:49], v[116:119]// 00000000F454: D3F30074 0DD26184
	v_mfma_f32_16x16x32_fp8_fp8 v[120:123], a[148:149], v[48:49], v[120:123]// 00000000F45C: D3F30078 0DE26194
	v_mfma_f32_16x16x32_fp8_fp8 v[116:119], a[134:135], v[50:51], v[116:119]// 00000000F464: D3F30074 0DD26586
	v_mfma_f32_16x16x32_fp8_fp8 v[120:123], a[150:151], v[50:51], v[120:123]// 00000000F46C: D3F30078 0DE26596
	s_addk_i32 s64, 0x100                                      // 00000000F474: B7400100

000000000000f478 <label_339E>:
	s_cmp_lt_i32 s64, s62                                      // 00000000F478: BF043E40
	s_cbranch_scc0 label_421E                                  // 00000000F47C: BF840E7E
	s_waitcnt vmcnt(10)                                        // 00000000F480: BF8C0F7A
	v_mfma_f32_16x16x32_fp8_fp8 v[4:7], a[24:25], a[0:1], 0    // 00000000F484: D3F30004 1A020118
	s_add_u32 s12, s86, s69                                    // 00000000F48C: 800C4556
	s_addc_u32 s13, s87, 0                                     // 00000000F490: 820D8057
	v_mfma_f32_16x16x32_fp8_fp8 v[4:7], a[26:27], a[2:3], v[4:7]// 00000000F494: D3F30004 1C12051A
	s_add_u32 s16, s88, s70                                    // 00000000F49C: 80104658
	s_addc_u32 s17, s89, 0                                     // 00000000F4A0: 82118059
	v_mfma_f32_16x16x32_fp8_fp8 v[4:7], a[28:29], a[4:5], v[4:7]// 00000000F4A4: D3F30004 1C12091C
	buffer_load_dwordx4 a[56:59], v229, s[12:15], 0 offen      // 00000000F4AC: E05C1000 808338E5
	v_mfma_f32_16x16x32_fp8_fp8 v[4:7], a[30:31], a[6:7], v[4:7]// 00000000F4B4: D3F30004 1C120D1E
	s_add_u32 s20, s90, s71                                    // 00000000F4BC: 8014475A
	s_addc_u32 s21, s91, 0                                     // 00000000F4C0: 8215805B
	v_mfma_f32_16x16x32_fp8_fp8 v[8:11], a[32:33], a[0:1], 0   // 00000000F4C4: D3F30008 1A020120
	s_add_u32 s24, s92, s71                                    // 00000000F4CC: 8018475C
	s_addc_u32 s25, s93, 0                                     // 00000000F4D0: 8219805D
	v_mfma_f32_16x16x32_fp8_fp8 v[8:11], a[34:35], a[2:3], v[8:11]// 00000000F4D4: D3F30008 1C220522
	s_mul_i32 s69, s59, s50                                    // 00000000F4DC: 9245323B
	s_mul_i32 s71, s59, s66                                    // 00000000F4E0: 9247423B
	v_mfma_f32_16x16x32_fp8_fp8 v[8:11], a[36:37], a[4:5], v[8:11]// 00000000F4E4: D3F30008 1C220924
	buffer_load_dwordx4 a[60:63], v230, s[12:15], 0 offen      // 00000000F4EC: E05C1000 80833CE6
	v_mfma_f32_16x16x32_fp8_fp8 v[8:11], a[38:39], a[6:7], v[8:11]// 00000000F4F4: D3F30008 1C220D26
	s_mul_i32 s54, s78, s51                                    // 00000000F4FC: 9236334E
	s_add_u32 s69, s69, s54                                    // 00000000F500: 80453645
	v_mfma_f32_16x16x32_fp8_fp8 v[12:15], a[40:41], a[0:1], 0  // 00000000F504: D3F3000C 1A020128
	s_mov_b32 s70, s69                                         // 00000000F50C: BEC60045
	v_mfma_f32_16x16x32_fp8_fp8 v[12:15], a[42:43], a[2:3], v[12:15]// 00000000F510: D3F3000C 1C32052A
	s_mul_i32 s54, s78, 4                                      // 00000000F518: 9236844E
	s_add_u32 s71, s71, s54                                    // 00000000F51C: 80473647
	v_mfma_f32_16x16x32_fp8_fp8 v[12:15], a[44:45], a[4:5], v[12:15]// 00000000F520: D3F3000C 1C32092C
	buffer_load_dwordx4 a[64:67], v229, s[12:15], 0 offen offset:1024// 00000000F528: E05C1400 808340E5
	v_mfma_f32_16x16x32_fp8_fp8 v[12:15], a[46:47], a[6:7], v[12:15]// 00000000F530: D3F3000C 1C320D2E
	v_mfma_f32_16x16x32_fp8_fp8 v[16:19], a[48:49], a[0:1], 0  // 00000000F538: D3F30010 1A020130
	v_mfma_f32_16x16x32_fp8_fp8 v[16:19], a[50:51], a[2:3], v[16:19]// 00000000F540: D3F30010 1C420532
	v_mfma_f32_16x16x32_fp8_fp8 v[16:19], a[52:53], a[4:5], v[16:19]// 00000000F548: D3F30010 1C420934
	buffer_load_dwordx4 a[68:71], v230, s[12:15], 0 offen offset:1024// 00000000F550: E05C1400 808344E6
	v_mfma_f32_16x16x32_fp8_fp8 v[16:19], a[54:55], a[6:7], v[16:19]// 00000000F558: D3F30010 1C420D36
	v_mfma_f32_16x16x32_fp8_fp8 v[20:23], a[24:25], a[8:9], 0  // 00000000F560: D3F30014 1A021118
	v_mfma_f32_16x16x32_fp8_fp8 v[20:23], a[26:27], a[10:11], v[20:23]// 00000000F568: D3F30014 1C52151A
	v_mfma_f32_16x16x32_fp8_fp8 v[20:23], a[28:29], a[12:13], v[20:23]// 00000000F570: D3F30014 1C52191C
	buffer_load_dwordx4 a[72:75], v229, s[12:15], 0 offen offset:2048// 00000000F578: E05C1800 808348E5
	v_mfma_f32_16x16x32_fp8_fp8 v[20:23], a[30:31], a[14:15], v[20:23]// 00000000F580: D3F30014 1C521D1E
	v_mfma_f32_16x16x32_fp8_fp8 v[24:27], a[32:33], a[8:9], 0  // 00000000F588: D3F30018 1A021120
	v_mfma_f32_16x16x32_fp8_fp8 v[24:27], a[34:35], a[10:11], v[24:27]// 00000000F590: D3F30018 1C621522
	v_mfma_f32_16x16x32_fp8_fp8 v[24:27], a[36:37], a[12:13], v[24:27]// 00000000F598: D3F30018 1C621924
	buffer_load_dwordx4 a[76:79], v230, s[12:15], 0 offen offset:2048// 00000000F5A0: E05C1800 80834CE6
	v_mfma_f32_16x16x32_fp8_fp8 v[24:27], a[38:39], a[14:15], v[24:27]// 00000000F5A8: D3F30018 1C621D26
	v_mfma_f32_16x16x32_fp8_fp8 v[28:31], a[40:41], a[8:9], 0  // 00000000F5B0: D3F3001C 1A021128
	v_mfma_f32_16x16x32_fp8_fp8 v[28:31], a[42:43], a[10:11], v[28:31]// 00000000F5B8: D3F3001C 1C72152A
	v_mfma_f32_16x16x32_fp8_fp8 v[28:31], a[44:45], a[12:13], v[28:31]// 00000000F5C0: D3F3001C 1C72192C
	buffer_load_dwordx4 a[80:83], v229, s[12:15], 0 offen offset:3072// 00000000F5C8: E05C1C00 808350E5
	v_mfma_f32_16x16x32_fp8_fp8 v[28:31], a[46:47], a[14:15], v[28:31]// 00000000F5D0: D3F3001C 1C721D2E
	v_mfma_f32_16x16x32_fp8_fp8 v[32:35], a[48:49], a[8:9], 0  // 00000000F5D8: D3F30020 1A021130
	v_mfma_f32_16x16x32_fp8_fp8 v[32:35], a[50:51], a[10:11], v[32:35]// 00000000F5E0: D3F30020 1C821532
	v_mfma_f32_16x16x32_fp8_fp8 v[32:35], a[52:53], a[12:13], v[32:35]// 00000000F5E8: D3F30020 1C821934
	buffer_load_dwordx4 a[84:87], v230, s[12:15], 0 offen offset:3072// 00000000F5F0: E05C1C00 808354E6
	v_mfma_f32_16x16x32_fp8_fp8 v[32:35], a[54:55], a[14:15], v[32:35]// 00000000F5F8: D3F30020 1C821D36
	v_mfma_f32_16x16x32_fp8_fp8 v[36:39], a[24:25], a[16:17], 0// 00000000F600: D3F30024 1A022118
	v_mfma_f32_16x16x32_fp8_fp8 v[36:39], a[26:27], a[18:19], v[36:39]// 00000000F608: D3F30024 1C92251A
	v_mfma_f32_16x16x32_fp8_fp8 v[36:39], a[28:29], a[20:21], v[36:39]// 00000000F610: D3F30024 1C92291C
	v_mfma_f32_16x16x32_fp8_fp8 v[36:39], a[30:31], a[22:23], v[36:39]// 00000000F618: D3F30024 1C922D1E
	v_mfma_f32_16x16x32_fp8_fp8 v[40:43], a[32:33], a[16:17], 0// 00000000F620: D3F30028 1A022120
	v_mfma_f32_16x16x32_fp8_fp8 v[40:43], a[34:35], a[18:19], v[40:43]// 00000000F628: D3F30028 1CA22522
	v_mfma_f32_16x16x32_fp8_fp8 v[40:43], a[36:37], a[20:21], v[40:43]// 00000000F630: D3F30028 1CA22924
	v_mfma_f32_16x16x32_fp8_fp8 v[40:43], a[38:39], a[22:23], v[40:43]// 00000000F638: D3F30028 1CA22D26
	v_mfma_f32_16x16x32_fp8_fp8 v[44:47], a[40:41], a[16:17], 0// 00000000F640: D3F3002C 1A022128
	v_mfma_f32_16x16x32_fp8_fp8 v[44:47], a[42:43], a[18:19], v[44:47]// 00000000F648: D3F3002C 1CB2252A
	v_mfma_f32_16x16x32_fp8_fp8 v[44:47], a[44:45], a[20:21], v[44:47]// 00000000F650: D3F3002C 1CB2292C
	v_mfma_f32_16x16x32_fp8_fp8 v[44:47], a[46:47], a[22:23], v[44:47]// 00000000F658: D3F3002C 1CB22D2E
	v_mfma_f32_16x16x32_fp8_fp8 v[48:51], a[48:49], a[16:17], 0// 00000000F660: D3F30030 1A022130
	v_mfma_f32_16x16x32_fp8_fp8 v[48:51], a[50:51], a[18:19], v[48:51]// 00000000F668: D3F30030 1CC22532
	v_mfma_f32_16x16x32_fp8_fp8 v[48:51], a[52:53], a[20:21], v[48:51]// 00000000F670: D3F30030 1CC22934
	v_mfma_f32_16x16x32_fp8_fp8 v[48:51], a[54:55], a[22:23], v[48:51]// 00000000F678: D3F30030 1CC22D36
	s_waitcnt vmcnt(16)                                        // 00000000F680: BF8C4F70
	v_pk_mul_f32 v[4:5], v[148:149], v[4:5]                    // 00000000F684: D3B14004 18020994
	v_pk_mul_f32 v[6:7], v[148:149], v[6:7]                    // 00000000F68C: D3B14006 18020D94
	v_mul_f32_dpp v4, v154, v4 row_newbcast:0 row_mask:0xf bank_mask:0xf// 00000000F694: 0A0808FA FF01509A
	v_mul_f32_dpp v5, v154, v5 row_newbcast:1 row_mask:0xf bank_mask:0xf// 00000000F69C: 0A0A0AFA FF01519A
	v_mul_f32_dpp v6, v154, v6 row_newbcast:2 row_mask:0xf bank_mask:0xf// 00000000F6A4: 0A0C0CFA FF01529A
	v_mul_f32_dpp v7, v154, v7 row_newbcast:3 row_mask:0xf bank_mask:0xf// 00000000F6AC: 0A0E0EFA FF01539A
	v_pk_mul_f32 v[8:9], v[148:149], v[8:9]                    // 00000000F6B4: D3B14008 18021194
	v_pk_mul_f32 v[10:11], v[148:149], v[10:11]                // 00000000F6BC: D3B1400A 18021594
	v_mul_f32_dpp v8, v154, v8 row_newbcast:4 row_mask:0xf bank_mask:0xf// 00000000F6C4: 0A1010FA FF01549A
	v_mul_f32_dpp v9, v154, v9 row_newbcast:5 row_mask:0xf bank_mask:0xf// 00000000F6CC: 0A1212FA FF01559A
	v_mul_f32_dpp v10, v154, v10 row_newbcast:6 row_mask:0xf bank_mask:0xf// 00000000F6D4: 0A1414FA FF01569A
	v_mul_f32_dpp v11, v154, v11 row_newbcast:7 row_mask:0xf bank_mask:0xf// 00000000F6DC: 0A1616FA FF01579A
	v_pk_mul_f32 v[12:13], v[148:149], v[12:13]                // 00000000F6E4: D3B1400C 18021994
	v_pk_mul_f32 v[14:15], v[148:149], v[14:15]                // 00000000F6EC: D3B1400E 18021D94
	v_mul_f32_dpp v12, v154, v12 row_newbcast:8 row_mask:0xf bank_mask:0xf// 00000000F6F4: 0A1818FA FF01589A
	v_mul_f32_dpp v13, v154, v13 row_newbcast:9 row_mask:0xf bank_mask:0xf// 00000000F6FC: 0A1A1AFA FF01599A
	v_mul_f32_dpp v14, v154, v14 row_newbcast:10 row_mask:0xf bank_mask:0xf// 00000000F704: 0A1C1CFA FF015A9A
	v_mul_f32_dpp v15, v154, v15 row_newbcast:11 row_mask:0xf bank_mask:0xf// 00000000F70C: 0A1E1EFA FF015B9A
	v_pk_mul_f32 v[16:17], v[148:149], v[16:17]                // 00000000F714: D3B14010 18022194
	v_pk_mul_f32 v[18:19], v[148:149], v[18:19]                // 00000000F71C: D3B14012 18022594
	v_mul_f32_dpp v16, v154, v16 row_newbcast:12 row_mask:0xf bank_mask:0xf// 00000000F724: 0A2020FA FF015C9A
	v_mul_f32_dpp v17, v154, v17 row_newbcast:13 row_mask:0xf bank_mask:0xf// 00000000F72C: 0A2222FA FF015D9A
	v_mul_f32_dpp v18, v154, v18 row_newbcast:14 row_mask:0xf bank_mask:0xf// 00000000F734: 0A2424FA FF015E9A
	v_mul_f32_dpp v19, v154, v19 row_newbcast:15 row_mask:0xf bank_mask:0xf// 00000000F73C: 0A2626FA FF015F9A
	v_pk_mul_f32 v[20:21], v[150:151], v[20:21]                // 00000000F744: D3B14014 18022996
	v_pk_mul_f32 v[22:23], v[150:151], v[22:23]                // 00000000F74C: D3B14016 18022D96
	v_mul_f32_dpp v20, v154, v20 row_newbcast:0 row_mask:0xf bank_mask:0xf// 00000000F754: 0A2828FA FF01509A
	v_mul_f32_dpp v21, v154, v21 row_newbcast:1 row_mask:0xf bank_mask:0xf// 00000000F75C: 0A2A2AFA FF01519A
	v_mul_f32_dpp v22, v154, v22 row_newbcast:2 row_mask:0xf bank_mask:0xf// 00000000F764: 0A2C2CFA FF01529A
	v_mul_f32_dpp v23, v154, v23 row_newbcast:3 row_mask:0xf bank_mask:0xf// 00000000F76C: 0A2E2EFA FF01539A
	v_pk_mul_f32 v[24:25], v[150:151], v[24:25]                // 00000000F774: D3B14018 18023196
	v_pk_mul_f32 v[26:27], v[150:151], v[26:27]                // 00000000F77C: D3B1401A 18023596
	v_mul_f32_dpp v24, v154, v24 row_newbcast:4 row_mask:0xf bank_mask:0xf// 00000000F784: 0A3030FA FF01549A
	v_mul_f32_dpp v25, v154, v25 row_newbcast:5 row_mask:0xf bank_mask:0xf// 00000000F78C: 0A3232FA FF01559A
	v_mul_f32_dpp v26, v154, v26 row_newbcast:6 row_mask:0xf bank_mask:0xf// 00000000F794: 0A3434FA FF01569A
	v_mul_f32_dpp v27, v154, v27 row_newbcast:7 row_mask:0xf bank_mask:0xf// 00000000F79C: 0A3636FA FF01579A
	v_pk_mul_f32 v[28:29], v[150:151], v[28:29]                // 00000000F7A4: D3B1401C 18023996
	v_pk_mul_f32 v[30:31], v[150:151], v[30:31]                // 00000000F7AC: D3B1401E 18023D96
	v_mul_f32_dpp v28, v154, v28 row_newbcast:8 row_mask:0xf bank_mask:0xf// 00000000F7B4: 0A3838FA FF01589A
	v_mul_f32_dpp v29, v154, v29 row_newbcast:9 row_mask:0xf bank_mask:0xf// 00000000F7BC: 0A3A3AFA FF01599A
	v_mul_f32_dpp v30, v154, v30 row_newbcast:10 row_mask:0xf bank_mask:0xf// 00000000F7C4: 0A3C3CFA FF015A9A
	v_mul_f32_dpp v31, v154, v31 row_newbcast:11 row_mask:0xf bank_mask:0xf// 00000000F7CC: 0A3E3EFA FF015B9A
	v_pk_mul_f32 v[32:33], v[150:151], v[32:33]                // 00000000F7D4: D3B14020 18024196
	v_pk_mul_f32 v[34:35], v[150:151], v[34:35]                // 00000000F7DC: D3B14022 18024596
	v_mul_f32_dpp v32, v154, v32 row_newbcast:12 row_mask:0xf bank_mask:0xf// 00000000F7E4: 0A4040FA FF015C9A
	v_mul_f32_dpp v33, v154, v33 row_newbcast:13 row_mask:0xf bank_mask:0xf// 00000000F7EC: 0A4242FA FF015D9A
	v_mul_f32_dpp v34, v154, v34 row_newbcast:14 row_mask:0xf bank_mask:0xf// 00000000F7F4: 0A4444FA FF015E9A
	v_mul_f32_dpp v35, v154, v35 row_newbcast:15 row_mask:0xf bank_mask:0xf// 00000000F7FC: 0A4646FA FF015F9A
	v_pk_mul_f32 v[36:37], v[152:153], v[36:37]                // 00000000F804: D3B14024 18024998
	v_pk_mul_f32 v[38:39], v[152:153], v[38:39]                // 00000000F80C: D3B14026 18024D98
	v_mul_f32_dpp v36, v154, v36 row_newbcast:0 row_mask:0xf bank_mask:0xf// 00000000F814: 0A4848FA FF01509A
	v_mul_f32_dpp v37, v154, v37 row_newbcast:1 row_mask:0xf bank_mask:0xf// 00000000F81C: 0A4A4AFA FF01519A
	v_mul_f32_dpp v38, v154, v38 row_newbcast:2 row_mask:0xf bank_mask:0xf// 00000000F824: 0A4C4CFA FF01529A
	v_mul_f32_dpp v39, v154, v39 row_newbcast:3 row_mask:0xf bank_mask:0xf// 00000000F82C: 0A4E4EFA FF01539A
	v_pk_mul_f32 v[40:41], v[152:153], v[40:41]                // 00000000F834: D3B14028 18025198
	v_pk_mul_f32 v[42:43], v[152:153], v[42:43]                // 00000000F83C: D3B1402A 18025598
	v_mul_f32_dpp v40, v154, v40 row_newbcast:4 row_mask:0xf bank_mask:0xf// 00000000F844: 0A5050FA FF01549A
	v_mul_f32_dpp v41, v154, v41 row_newbcast:5 row_mask:0xf bank_mask:0xf// 00000000F84C: 0A5252FA FF01559A
	v_mul_f32_dpp v42, v154, v42 row_newbcast:6 row_mask:0xf bank_mask:0xf// 00000000F854: 0A5454FA FF01569A
	v_mul_f32_dpp v43, v154, v43 row_newbcast:7 row_mask:0xf bank_mask:0xf// 00000000F85C: 0A5656FA FF01579A
	v_pk_mul_f32 v[44:45], v[152:153], v[44:45]                // 00000000F864: D3B1402C 18025998
	v_pk_mul_f32 v[46:47], v[152:153], v[46:47]                // 00000000F86C: D3B1402E 18025D98
	v_mul_f32_dpp v44, v154, v44 row_newbcast:8 row_mask:0xf bank_mask:0xf// 00000000F874: 0A5858FA FF01589A
	v_mul_f32_dpp v45, v154, v45 row_newbcast:9 row_mask:0xf bank_mask:0xf// 00000000F87C: 0A5A5AFA FF01599A
	v_mul_f32_dpp v46, v154, v46 row_newbcast:10 row_mask:0xf bank_mask:0xf// 00000000F884: 0A5C5CFA FF015A9A
	v_mul_f32_dpp v47, v154, v47 row_newbcast:11 row_mask:0xf bank_mask:0xf// 00000000F88C: 0A5E5EFA FF015B9A
	v_pk_mul_f32 v[48:49], v[152:153], v[48:49]                // 00000000F894: D3B14030 18026198
	v_pk_mul_f32 v[50:51], v[152:153], v[50:51]                // 00000000F89C: D3B14032 18026598
	v_mul_f32_dpp v48, v154, v48 row_newbcast:12 row_mask:0xf bank_mask:0xf// 00000000F8A4: 0A6060FA FF015C9A
	v_mul_f32_dpp v49, v154, v49 row_newbcast:13 row_mask:0xf bank_mask:0xf// 00000000F8AC: 0A6262FA FF015D9A
	v_mul_f32_dpp v50, v154, v50 row_newbcast:14 row_mask:0xf bank_mask:0xf// 00000000F8B4: 0A6464FA FF015E9A
	v_mul_f32_dpp v51, v154, v51 row_newbcast:15 row_mask:0xf bank_mask:0xf// 00000000F8BC: 0A6666FA FF015F9A
	v_add_u32_e32 v204, s64, v221                              // 00000000F8C4: 6999BA40
	v_add_u32_e32 v205, 0, v204                                // 00000000F8C8: 699B9880
	v_cmp_lt_u32_e64 s[98:99], v205, v218                      // 00000000F8CC: D0C90062 0003B5CD
	s_nop 0                                                    // 00000000F8D4: BF800000
	v_cndmask_b32_e64 v4, v222, v4, s[98:99]                   // 00000000F8D8: D1000004 018A09DE
	v_add_u32_e32 v205, 1, v204                                // 00000000F8E0: 699B9881
	v_cmp_lt_u32_e64 s[98:99], v205, v218                      // 00000000F8E4: D0C90062 0003B5CD
	s_nop 0                                                    // 00000000F8EC: BF800000
	v_cndmask_b32_e64 v5, v222, v5, s[98:99]                   // 00000000F8F0: D1000005 018A0BDE
	v_add_u32_e32 v205, 2, v204                                // 00000000F8F8: 699B9882
	v_cmp_lt_u32_e64 s[98:99], v205, v218                      // 00000000F8FC: D0C90062 0003B5CD
	s_nop 0                                                    // 00000000F904: BF800000
	v_cndmask_b32_e64 v6, v222, v6, s[98:99]                   // 00000000F908: D1000006 018A0DDE
	v_add_u32_e32 v205, 3, v204                                // 00000000F910: 699B9883
	v_cmp_lt_u32_e64 s[98:99], v205, v218                      // 00000000F914: D0C90062 0003B5CD
	s_nop 0                                                    // 00000000F91C: BF800000
	v_cndmask_b32_e64 v7, v222, v7, s[98:99]                   // 00000000F920: D1000007 018A0FDE
	v_add_u32_e32 v205, 64, v204                               // 00000000F928: 699B98C0
	v_cmp_lt_u32_e64 s[98:99], v205, v218                      // 00000000F92C: D0C90062 0003B5CD
	s_nop 0                                                    // 00000000F934: BF800000
	v_cndmask_b32_e64 v8, v222, v8, s[98:99]                   // 00000000F938: D1000008 018A11DE
	v_add_u32_e32 v205, 0x41, v204                             // 00000000F940: 699B98FF 00000041
	v_cmp_lt_u32_e64 s[98:99], v205, v218                      // 00000000F948: D0C90062 0003B5CD
	s_nop 0                                                    // 00000000F950: BF800000
	v_cndmask_b32_e64 v9, v222, v9, s[98:99]                   // 00000000F954: D1000009 018A13DE
	v_add_u32_e32 v205, 0x42, v204                             // 00000000F95C: 699B98FF 00000042
	v_cmp_lt_u32_e64 s[98:99], v205, v218                      // 00000000F964: D0C90062 0003B5CD
	s_nop 0                                                    // 00000000F96C: BF800000
	v_cndmask_b32_e64 v10, v222, v10, s[98:99]                 // 00000000F970: D100000A 018A15DE
	v_add_u32_e32 v205, 0x43, v204                             // 00000000F978: 699B98FF 00000043
	v_cmp_lt_u32_e64 s[98:99], v205, v218                      // 00000000F980: D0C90062 0003B5CD
	s_nop 0                                                    // 00000000F988: BF800000
	v_cndmask_b32_e64 v11, v222, v11, s[98:99]                 // 00000000F98C: D100000B 018A17DE
	v_add_u32_e32 v205, 0x80, v204                             // 00000000F994: 699B98FF 00000080
	v_cmp_lt_u32_e64 s[98:99], v205, v218                      // 00000000F99C: D0C90062 0003B5CD
	s_nop 0                                                    // 00000000F9A4: BF800000
	v_cndmask_b32_e64 v12, v222, v12, s[98:99]                 // 00000000F9A8: D100000C 018A19DE
	v_add_u32_e32 v205, 0x81, v204                             // 00000000F9B0: 699B98FF 00000081
	v_cmp_lt_u32_e64 s[98:99], v205, v218                      // 00000000F9B8: D0C90062 0003B5CD
	s_nop 0                                                    // 00000000F9C0: BF800000
	v_cndmask_b32_e64 v13, v222, v13, s[98:99]                 // 00000000F9C4: D100000D 018A1BDE
	v_add_u32_e32 v205, 0x82, v204                             // 00000000F9CC: 699B98FF 00000082
	v_cmp_lt_u32_e64 s[98:99], v205, v218                      // 00000000F9D4: D0C90062 0003B5CD
	s_nop 0                                                    // 00000000F9DC: BF800000
	v_cndmask_b32_e64 v14, v222, v14, s[98:99]                 // 00000000F9E0: D100000E 018A1DDE
	v_add_u32_e32 v205, 0x83, v204                             // 00000000F9E8: 699B98FF 00000083
	v_cmp_lt_u32_e64 s[98:99], v205, v218                      // 00000000F9F0: D0C90062 0003B5CD
	s_nop 0                                                    // 00000000F9F8: BF800000
	v_cndmask_b32_e64 v15, v222, v15, s[98:99]                 // 00000000F9FC: D100000F 018A1FDE
	v_add_u32_e32 v205, 0xc0, v204                             // 00000000FA04: 699B98FF 000000C0
	v_cmp_lt_u32_e64 s[98:99], v205, v218                      // 00000000FA0C: D0C90062 0003B5CD
	s_nop 0                                                    // 00000000FA14: BF800000
	v_cndmask_b32_e64 v16, v222, v16, s[98:99]                 // 00000000FA18: D1000010 018A21DE
	v_add_u32_e32 v205, 0xc1, v204                             // 00000000FA20: 699B98FF 000000C1
	v_cmp_lt_u32_e64 s[98:99], v205, v218                      // 00000000FA28: D0C90062 0003B5CD
	s_nop 0                                                    // 00000000FA30: BF800000
	v_cndmask_b32_e64 v17, v222, v17, s[98:99]                 // 00000000FA34: D1000011 018A23DE
	v_add_u32_e32 v205, 0xc2, v204                             // 00000000FA3C: 699B98FF 000000C2
	v_cmp_lt_u32_e64 s[98:99], v205, v218                      // 00000000FA44: D0C90062 0003B5CD
	s_nop 0                                                    // 00000000FA4C: BF800000
	v_cndmask_b32_e64 v18, v222, v18, s[98:99]                 // 00000000FA50: D1000012 018A25DE
	v_add_u32_e32 v205, 0xc3, v204                             // 00000000FA58: 699B98FF 000000C3
	v_cmp_lt_u32_e64 s[98:99], v205, v218                      // 00000000FA60: D0C90062 0003B5CD
	s_nop 0                                                    // 00000000FA68: BF800000
	v_cndmask_b32_e64 v19, v222, v19, s[98:99]                 // 00000000FA6C: D1000013 018A27DE
	v_add_u32_e32 v205, 0, v204                                // 00000000FA74: 699B9880
	v_cmp_lt_u32_e64 s[98:99], v205, v219                      // 00000000FA78: D0C90062 0003B7CD
	s_nop 0                                                    // 00000000FA80: BF800000
	v_cndmask_b32_e64 v20, v222, v20, s[98:99]                 // 00000000FA84: D1000014 018A29DE
	v_add_u32_e32 v205, 1, v204                                // 00000000FA8C: 699B9881
	v_cmp_lt_u32_e64 s[98:99], v205, v219                      // 00000000FA90: D0C90062 0003B7CD
	s_nop 0                                                    // 00000000FA98: BF800000
	v_cndmask_b32_e64 v21, v222, v21, s[98:99]                 // 00000000FA9C: D1000015 018A2BDE
	v_add_u32_e32 v205, 2, v204                                // 00000000FAA4: 699B9882
	v_cmp_lt_u32_e64 s[98:99], v205, v219                      // 00000000FAA8: D0C90062 0003B7CD
	s_nop 0                                                    // 00000000FAB0: BF800000
	v_cndmask_b32_e64 v22, v222, v22, s[98:99]                 // 00000000FAB4: D1000016 018A2DDE
	v_add_u32_e32 v205, 3, v204                                // 00000000FABC: 699B9883
	v_cmp_lt_u32_e64 s[98:99], v205, v219                      // 00000000FAC0: D0C90062 0003B7CD
	s_nop 0                                                    // 00000000FAC8: BF800000
	v_cndmask_b32_e64 v23, v222, v23, s[98:99]                 // 00000000FACC: D1000017 018A2FDE
	v_add_u32_e32 v205, 64, v204                               // 00000000FAD4: 699B98C0
	v_cmp_lt_u32_e64 s[98:99], v205, v219                      // 00000000FAD8: D0C90062 0003B7CD
	s_nop 0                                                    // 00000000FAE0: BF800000
	v_cndmask_b32_e64 v24, v222, v24, s[98:99]                 // 00000000FAE4: D1000018 018A31DE
	v_add_u32_e32 v205, 0x41, v204                             // 00000000FAEC: 699B98FF 00000041
	v_cmp_lt_u32_e64 s[98:99], v205, v219                      // 00000000FAF4: D0C90062 0003B7CD
	s_nop 0                                                    // 00000000FAFC: BF800000
	v_cndmask_b32_e64 v25, v222, v25, s[98:99]                 // 00000000FB00: D1000019 018A33DE
	v_add_u32_e32 v205, 0x42, v204                             // 00000000FB08: 699B98FF 00000042
	v_cmp_lt_u32_e64 s[98:99], v205, v219                      // 00000000FB10: D0C90062 0003B7CD
	s_nop 0                                                    // 00000000FB18: BF800000
	v_cndmask_b32_e64 v26, v222, v26, s[98:99]                 // 00000000FB1C: D100001A 018A35DE
	v_add_u32_e32 v205, 0x43, v204                             // 00000000FB24: 699B98FF 00000043
	v_cmp_lt_u32_e64 s[98:99], v205, v219                      // 00000000FB2C: D0C90062 0003B7CD
	s_nop 0                                                    // 00000000FB34: BF800000
	v_cndmask_b32_e64 v27, v222, v27, s[98:99]                 // 00000000FB38: D100001B 018A37DE
	v_add_u32_e32 v205, 0x80, v204                             // 00000000FB40: 699B98FF 00000080
	v_cmp_lt_u32_e64 s[98:99], v205, v219                      // 00000000FB48: D0C90062 0003B7CD
	s_nop 0                                                    // 00000000FB50: BF800000
	v_cndmask_b32_e64 v28, v222, v28, s[98:99]                 // 00000000FB54: D100001C 018A39DE
	v_add_u32_e32 v205, 0x81, v204                             // 00000000FB5C: 699B98FF 00000081
	v_cmp_lt_u32_e64 s[98:99], v205, v219                      // 00000000FB64: D0C90062 0003B7CD
	s_nop 0                                                    // 00000000FB6C: BF800000
	v_cndmask_b32_e64 v29, v222, v29, s[98:99]                 // 00000000FB70: D100001D 018A3BDE
	v_add_u32_e32 v205, 0x82, v204                             // 00000000FB78: 699B98FF 00000082
	v_cmp_lt_u32_e64 s[98:99], v205, v219                      // 00000000FB80: D0C90062 0003B7CD
	s_nop 0                                                    // 00000000FB88: BF800000
	v_cndmask_b32_e64 v30, v222, v30, s[98:99]                 // 00000000FB8C: D100001E 018A3DDE
	v_add_u32_e32 v205, 0x83, v204                             // 00000000FB94: 699B98FF 00000083
	v_cmp_lt_u32_e64 s[98:99], v205, v219                      // 00000000FB9C: D0C90062 0003B7CD
	s_nop 0                                                    // 00000000FBA4: BF800000
	v_cndmask_b32_e64 v31, v222, v31, s[98:99]                 // 00000000FBA8: D100001F 018A3FDE
	v_add_u32_e32 v205, 0xc0, v204                             // 00000000FBB0: 699B98FF 000000C0
	v_cmp_lt_u32_e64 s[98:99], v205, v219                      // 00000000FBB8: D0C90062 0003B7CD
	s_nop 0                                                    // 00000000FBC0: BF800000
	v_cndmask_b32_e64 v32, v222, v32, s[98:99]                 // 00000000FBC4: D1000020 018A41DE
	v_add_u32_e32 v205, 0xc1, v204                             // 00000000FBCC: 699B98FF 000000C1
	v_cmp_lt_u32_e64 s[98:99], v205, v219                      // 00000000FBD4: D0C90062 0003B7CD
	s_nop 0                                                    // 00000000FBDC: BF800000
	v_cndmask_b32_e64 v33, v222, v33, s[98:99]                 // 00000000FBE0: D1000021 018A43DE
	v_add_u32_e32 v205, 0xc2, v204                             // 00000000FBE8: 699B98FF 000000C2
	v_cmp_lt_u32_e64 s[98:99], v205, v219                      // 00000000FBF0: D0C90062 0003B7CD
	s_nop 0                                                    // 00000000FBF8: BF800000
	v_cndmask_b32_e64 v34, v222, v34, s[98:99]                 // 00000000FBFC: D1000022 018A45DE
	v_add_u32_e32 v205, 0xc3, v204                             // 00000000FC04: 699B98FF 000000C3
	v_cmp_lt_u32_e64 s[98:99], v205, v219                      // 00000000FC0C: D0C90062 0003B7CD
	s_nop 0                                                    // 00000000FC14: BF800000
	v_cndmask_b32_e64 v35, v222, v35, s[98:99]                 // 00000000FC18: D1000023 018A47DE
	v_add_u32_e32 v205, 0, v204                                // 00000000FC20: 699B9880
	v_cmp_lt_u32_e64 s[98:99], v205, v220                      // 00000000FC24: D0C90062 0003B9CD
	s_nop 0                                                    // 00000000FC2C: BF800000
	v_cndmask_b32_e64 v36, v222, v36, s[98:99]                 // 00000000FC30: D1000024 018A49DE
	v_add_u32_e32 v205, 1, v204                                // 00000000FC38: 699B9881
	v_cmp_lt_u32_e64 s[98:99], v205, v220                      // 00000000FC3C: D0C90062 0003B9CD
	s_nop 0                                                    // 00000000FC44: BF800000
	v_cndmask_b32_e64 v37, v222, v37, s[98:99]                 // 00000000FC48: D1000025 018A4BDE
	v_add_u32_e32 v205, 2, v204                                // 00000000FC50: 699B9882
	v_cmp_lt_u32_e64 s[98:99], v205, v220                      // 00000000FC54: D0C90062 0003B9CD
	s_nop 0                                                    // 00000000FC5C: BF800000
	v_cndmask_b32_e64 v38, v222, v38, s[98:99]                 // 00000000FC60: D1000026 018A4DDE
	v_add_u32_e32 v205, 3, v204                                // 00000000FC68: 699B9883
	v_cmp_lt_u32_e64 s[98:99], v205, v220                      // 00000000FC6C: D0C90062 0003B9CD
	s_nop 0                                                    // 00000000FC74: BF800000
	v_cndmask_b32_e64 v39, v222, v39, s[98:99]                 // 00000000FC78: D1000027 018A4FDE
	v_add_u32_e32 v205, 64, v204                               // 00000000FC80: 699B98C0
	v_cmp_lt_u32_e64 s[98:99], v205, v220                      // 00000000FC84: D0C90062 0003B9CD
	s_nop 0                                                    // 00000000FC8C: BF800000
	v_cndmask_b32_e64 v40, v222, v40, s[98:99]                 // 00000000FC90: D1000028 018A51DE
	v_add_u32_e32 v205, 0x41, v204                             // 00000000FC98: 699B98FF 00000041
	v_cmp_lt_u32_e64 s[98:99], v205, v220                      // 00000000FCA0: D0C90062 0003B9CD
	s_nop 0                                                    // 00000000FCA8: BF800000
	v_cndmask_b32_e64 v41, v222, v41, s[98:99]                 // 00000000FCAC: D1000029 018A53DE
	v_add_u32_e32 v205, 0x42, v204                             // 00000000FCB4: 699B98FF 00000042
	v_cmp_lt_u32_e64 s[98:99], v205, v220                      // 00000000FCBC: D0C90062 0003B9CD
	s_nop 0                                                    // 00000000FCC4: BF800000
	v_cndmask_b32_e64 v42, v222, v42, s[98:99]                 // 00000000FCC8: D100002A 018A55DE
	v_add_u32_e32 v205, 0x43, v204                             // 00000000FCD0: 699B98FF 00000043
	v_cmp_lt_u32_e64 s[98:99], v205, v220                      // 00000000FCD8: D0C90062 0003B9CD
	s_nop 0                                                    // 00000000FCE0: BF800000
	v_cndmask_b32_e64 v43, v222, v43, s[98:99]                 // 00000000FCE4: D100002B 018A57DE
	v_add_u32_e32 v205, 0x80, v204                             // 00000000FCEC: 699B98FF 00000080
	v_cmp_lt_u32_e64 s[98:99], v205, v220                      // 00000000FCF4: D0C90062 0003B9CD
	s_nop 0                                                    // 00000000FCFC: BF800000
	v_cndmask_b32_e64 v44, v222, v44, s[98:99]                 // 00000000FD00: D100002C 018A59DE
	v_add_u32_e32 v205, 0x81, v204                             // 00000000FD08: 699B98FF 00000081
	v_cmp_lt_u32_e64 s[98:99], v205, v220                      // 00000000FD10: D0C90062 0003B9CD
	s_nop 0                                                    // 00000000FD18: BF800000
	v_cndmask_b32_e64 v45, v222, v45, s[98:99]                 // 00000000FD1C: D100002D 018A5BDE
	v_add_u32_e32 v205, 0x82, v204                             // 00000000FD24: 699B98FF 00000082
	v_cmp_lt_u32_e64 s[98:99], v205, v220                      // 00000000FD2C: D0C90062 0003B9CD
	s_nop 0                                                    // 00000000FD34: BF800000
	v_cndmask_b32_e64 v46, v222, v46, s[98:99]                 // 00000000FD38: D100002E 018A5DDE
	v_add_u32_e32 v205, 0x83, v204                             // 00000000FD40: 699B98FF 00000083
	v_cmp_lt_u32_e64 s[98:99], v205, v220                      // 00000000FD48: D0C90062 0003B9CD
	s_nop 0                                                    // 00000000FD50: BF800000
	v_cndmask_b32_e64 v47, v222, v47, s[98:99]                 // 00000000FD54: D100002F 018A5FDE
	v_add_u32_e32 v205, 0xc0, v204                             // 00000000FD5C: 699B98FF 000000C0
	v_cmp_lt_u32_e64 s[98:99], v205, v220                      // 00000000FD64: D0C90062 0003B9CD
	s_nop 0                                                    // 00000000FD6C: BF800000
	v_cndmask_b32_e64 v48, v222, v48, s[98:99]                 // 00000000FD70: D1000030 018A61DE
	v_add_u32_e32 v205, 0xc1, v204                             // 00000000FD78: 699B98FF 000000C1
	v_cmp_lt_u32_e64 s[98:99], v205, v220                      // 00000000FD80: D0C90062 0003B9CD
	s_nop 0                                                    // 00000000FD88: BF800000
	v_cndmask_b32_e64 v49, v222, v49, s[98:99]                 // 00000000FD8C: D1000031 018A63DE
	v_add_u32_e32 v205, 0xc2, v204                             // 00000000FD94: 699B98FF 000000C2
	v_cmp_lt_u32_e64 s[98:99], v205, v220                      // 00000000FD9C: D0C90062 0003B9CD
	s_nop 0                                                    // 00000000FDA4: BF800000
	v_cndmask_b32_e64 v50, v222, v50, s[98:99]                 // 00000000FDA8: D1000032 018A65DE
	v_add_u32_e32 v205, 0xc3, v204                             // 00000000FDB0: 699B98FF 000000C3
	v_cmp_lt_u32_e64 s[98:99], v205, v220                      // 00000000FDB8: D0C90062 0003B9CD
	s_nop 0                                                    // 00000000FDC0: BF800000
	v_cndmask_b32_e64 v51, v222, v51, s[98:99]                 // 00000000FDC4: D1000033 018A67DE
	v_mov_b32_e32 v182, v4                                     // 00000000FDCC: 7F6C0304
	v_max3_f32 v182, v4, v5, v182                              // 00000000FDD0: D1D300B6 06DA0B04
	v_max3_f32 v182, v6, v7, v182                              // 00000000FDD8: D1D300B6 06DA0F06
	v_max3_f32 v182, v8, v9, v182                              // 00000000FDE0: D1D300B6 06DA1308
	v_max3_f32 v182, v10, v11, v182                            // 00000000FDE8: D1D300B6 06DA170A
	v_max3_f32 v182, v12, v13, v182                            // 00000000FDF0: D1D300B6 06DA1B0C
	v_max3_f32 v182, v14, v15, v182                            // 00000000FDF8: D1D300B6 06DA1F0E
	v_max3_f32 v182, v16, v17, v182                            // 00000000FE00: D1D300B6 06DA2310
	v_max3_f32 v182, v18, v19, v182                            // 00000000FE08: D1D300B6 06DA2712
	v_mov_b32_e32 v183, v20                                    // 00000000FE10: 7F6E0314
	v_max3_f32 v183, v20, v21, v183                            // 00000000FE14: D1D300B7 06DE2B14
	v_max3_f32 v183, v22, v23, v183                            // 00000000FE1C: D1D300B7 06DE2F16
	v_max3_f32 v183, v24, v25, v183                            // 00000000FE24: D1D300B7 06DE3318
	v_max3_f32 v183, v26, v27, v183                            // 00000000FE2C: D1D300B7 06DE371A
	v_max3_f32 v183, v28, v29, v183                            // 00000000FE34: D1D300B7 06DE3B1C
	v_max3_f32 v183, v30, v31, v183                            // 00000000FE3C: D1D300B7 06DE3F1E
	v_max3_f32 v183, v32, v33, v183                            // 00000000FE44: D1D300B7 06DE4320
	v_max3_f32 v183, v34, v35, v183                            // 00000000FE4C: D1D300B7 06DE4722
	v_mov_b32_e32 v184, v36                                    // 00000000FE54: 7F700324
	v_max3_f32 v184, v36, v37, v184                            // 00000000FE58: D1D300B8 06E24B24
	v_max3_f32 v184, v38, v39, v184                            // 00000000FE60: D1D300B8 06E24F26
	v_max3_f32 v184, v40, v41, v184                            // 00000000FE68: D1D300B8 06E25328
	v_max3_f32 v184, v42, v43, v184                            // 00000000FE70: D1D300B8 06E2572A
	v_max3_f32 v184, v44, v45, v184                            // 00000000FE78: D1D300B8 06E25B2C
	v_max3_f32 v184, v46, v47, v184                            // 00000000FE80: D1D300B8 06E25F2E
	v_max3_f32 v184, v48, v49, v184                            // 00000000FE88: D1D300B8 06E26330
	v_max3_f32 v184, v50, v51, v184                            // 00000000FE90: D1D300B8 06E26732
	ds_bpermute_b32 v188, v208, v182                           // 00000000FE98: D87E0000 BC00B6D0
	ds_bpermute_b32 v189, v209, v182                           // 00000000FEA0: D87E0000 BD00B6D1
	ds_bpermute_b32 v190, v210, v182                           // 00000000FEA8: D87E0000 BE00B6D2
	ds_bpermute_b32 v191, v208, v183                           // 00000000FEB0: D87E0000 BF00B7D0
	ds_bpermute_b32 v192, v209, v183                           // 00000000FEB8: D87E0000 C000B7D1
	ds_bpermute_b32 v193, v210, v183                           // 00000000FEC0: D87E0000 C100B7D2
	ds_bpermute_b32 v194, v208, v184                           // 00000000FEC8: D87E0000 C200B8D0
	ds_bpermute_b32 v195, v209, v184                           // 00000000FED0: D87E0000 C300B8D1
	ds_bpermute_b32 v196, v210, v184                           // 00000000FED8: D87E0000 C400B8D2
	v_pk_mul_f32 v[124:125], v[170:171], v[124:125]            // 00000000FEE0: D3B1407C 1802F9AA
	v_pk_mul_f32 v[126:127], v[170:171], v[126:127]            // 00000000FEE8: D3B1407E 1802FDAA
	v_pk_mul_f32 v[128:129], v[170:171], v[128:129]            // 00000000FEF0: D3B14080 180301AA
	v_pk_mul_f32 v[130:131], v[170:171], v[130:131]            // 00000000FEF8: D3B14082 180305AA
	v_pk_mul_f32 v[132:133], v[172:173], v[132:133]            // 00000000FF00: D3B14084 180309AC
	v_pk_mul_f32 v[134:135], v[172:173], v[134:135]            // 00000000FF08: D3B14086 18030DAC
	v_pk_mul_f32 v[136:137], v[172:173], v[136:137]            // 00000000FF10: D3B14088 180311AC
	v_pk_mul_f32 v[138:139], v[172:173], v[138:139]            // 00000000FF18: D3B1408A 180315AC
	v_pk_mul_f32 v[140:141], v[174:175], v[140:141]            // 00000000FF20: D3B1408C 180319AE
	v_pk_mul_f32 v[142:143], v[174:175], v[142:143]            // 00000000FF28: D3B1408E 18031DAE
	v_pk_mul_f32 v[144:145], v[174:175], v[144:145]            // 00000000FF30: D3B14090 180321AE
	v_pk_mul_f32 v[146:147], v[174:175], v[146:147]            // 00000000FF38: D3B14092 180325AE
	s_waitcnt lgkmcnt(6)                                       // 00000000FF40: BF8CC67F
	v_max3_f32 v182, v188, v189, v182                          // 00000000FF44: D1D300B6 06DB7BBC
	v_max_f32_e32 v182, v190, v182                             // 00000000FF4C: 176D6DBE
	s_waitcnt lgkmcnt(3)                                       // 00000000FF50: BF8CC37F
	v_max3_f32 v183, v191, v192, v183                          // 00000000FF54: D1D300B7 06DF81BF
	v_max_f32_e32 v183, v193, v183                             // 00000000FF5C: 176F6FC1
	s_waitcnt lgkmcnt(0)                                       // 00000000FF60: BF8CC07F
	v_max3_f32 v184, v194, v195, v184                          // 00000000FF64: D1D300B8 06E387C2
	v_max_f32_e32 v184, v196, v184                             // 00000000FF6C: 177171C4
	ds_write_b128 v249, v[182:185]                             // 00000000FF70: D9BE0000 0000B6F9
	s_waitcnt lgkmcnt(0)                                       // 00000000FF78: BF8CC07F
	s_barrier                                                  // 00000000FF7C: BF8A0000
	ds_read_b128 v[188:191], v250                              // 00000000FF80: D9FE0000 BC0000FA
	ds_read_b128 v[192:195], v250 offset:256                   // 00000000FF88: D9FE0100 C00000FA
	ds_read_b128 v[196:199], v250 offset:512                   // 00000000FF90: D9FE0200 C40000FA
	ds_read_b128 v[200:203], v250 offset:768                   // 00000000FF98: D9FE0300 C80000FA
	v_pk_mul_f32 v[100:101], v[158:159], v[100:101]            // 00000000FFA0: D3B14064 1802C99E
	v_pk_mul_f32 v[102:103], v[158:159], v[102:103]            // 00000000FFA8: D3B14066 1802CD9E
	v_pk_mul_f32 v[104:105], v[158:159], v[104:105]            // 00000000FFB0: D3B14068 1802D19E
	v_pk_mul_f32 v[106:107], v[158:159], v[106:107]            // 00000000FFB8: D3B1406A 1802D59E
	v_pk_mul_f32 v[108:109], v[160:161], v[108:109]            // 00000000FFC0: D3B1406C 1802D9A0
	v_pk_mul_f32 v[110:111], v[160:161], v[110:111]            // 00000000FFC8: D3B1406E 1802DDA0
	v_pk_mul_f32 v[112:113], v[160:161], v[112:113]            // 00000000FFD0: D3B14070 1802E1A0
	v_pk_mul_f32 v[114:115], v[160:161], v[114:115]            // 00000000FFD8: D3B14072 1802E5A0
	v_pk_mul_f32 v[116:117], v[162:163], v[116:117]            // 00000000FFE0: D3B14074 1802E9A2
	v_pk_mul_f32 v[118:119], v[162:163], v[118:119]            // 00000000FFE8: D3B14076 1802EDA2
	v_pk_mul_f32 v[120:121], v[162:163], v[120:121]            // 00000000FFF0: D3B14078 1802F1A2
	v_pk_mul_f32 v[122:123], v[162:163], v[122:123]            // 00000000FFF8: D3B1407A 1802F5A2
	s_waitcnt lgkmcnt(0)                                       // 000000010000: BF8CC07F
	v_max3_f32 v182, v188, v192, v182                          // 000000010004: D1D300B6 06DB81BC
	v_max3_f32 v183, v189, v193, v183                          // 00000001000C: D1D300B7 06DF83BD
	v_max3_f32 v184, v190, v194, v184                          // 000000010014: D1D300B8 06E385BE
	v_max3_f32 v182, v196, v200, v182                          // 00000001001C: D1D300B6 06DB91C4
	v_max3_f32 v183, v197, v201, v183                          // 000000010024: D1D300B7 06DF93C5
	v_max3_f32 v184, v198, v202, v184                          // 00000001002C: D1D300B8 06E395C6
	v_max_f32_e32 v167, v182, v164                             // 000000010034: 174F49B6
	v_mul_f32_e64 v204, -s46, v167                             // 000000010038: D10500CC 20034E2E
	v_mov_b32_e32 v205, v204                                   // 000000010040: 7F9A03CC
	v_pk_fma_f32 v[4:5], v[4:5], s[46:47], v[204:205]          // 000000010044: D3B04004 1F305D04
	v_pk_fma_f32 v[6:7], v[6:7], s[46:47], v[204:205]          // 00000001004C: D3B04006 1F305D06
	v_exp_f32_e32 v4, v4                                       // 000000010054: 7E084104
	v_exp_f32_e32 v5, v5                                       // 000000010058: 7E0A4105
	v_exp_f32_e32 v6, v6                                       // 00000001005C: 7E0C4106
	v_exp_f32_e32 v7, v7                                       // 000000010060: 7E0E4107
	v_pk_fma_f32 v[8:9], v[8:9], s[46:47], v[204:205]          // 000000010064: D3B04008 1F305D08
	v_pk_fma_f32 v[10:11], v[10:11], s[46:47], v[204:205]      // 00000001006C: D3B0400A 1F305D0A
	v_exp_f32_e32 v8, v8                                       // 000000010074: 7E104108
	v_exp_f32_e32 v9, v9                                       // 000000010078: 7E124109
	v_exp_f32_e32 v10, v10                                     // 00000001007C: 7E14410A
	v_exp_f32_e32 v11, v11                                     // 000000010080: 7E16410B
	v_pk_fma_f32 v[12:13], v[12:13], s[46:47], v[204:205]      // 000000010084: D3B0400C 1F305D0C
	v_pk_fma_f32 v[14:15], v[14:15], s[46:47], v[204:205]      // 00000001008C: D3B0400E 1F305D0E
	v_exp_f32_e32 v12, v12                                     // 000000010094: 7E18410C
	v_exp_f32_e32 v13, v13                                     // 000000010098: 7E1A410D
	v_exp_f32_e32 v14, v14                                     // 00000001009C: 7E1C410E
	v_exp_f32_e32 v15, v15                                     // 0000000100A0: 7E1E410F
	v_pk_fma_f32 v[16:17], v[16:17], s[46:47], v[204:205]      // 0000000100A4: D3B04010 1F305D10
	v_pk_fma_f32 v[18:19], v[18:19], s[46:47], v[204:205]      // 0000000100AC: D3B04012 1F305D12
	v_exp_f32_e32 v16, v16                                     // 0000000100B4: 7E204110
	v_exp_f32_e32 v17, v17                                     // 0000000100B8: 7E224111
	v_exp_f32_e32 v18, v18                                     // 0000000100BC: 7E244112
	v_exp_f32_e32 v19, v19                                     // 0000000100C0: 7E264113
	v_max_f32_e32 v168, v183, v165                             // 0000000100C4: 17514BB7
	v_mul_f32_e64 v204, -s46, v168                             // 0000000100C8: D10500CC 2003502E
	v_mov_b32_e32 v205, v204                                   // 0000000100D0: 7F9A03CC
	v_pk_fma_f32 v[20:21], v[20:21], s[46:47], v[204:205]      // 0000000100D4: D3B04014 1F305D14
	v_pk_fma_f32 v[22:23], v[22:23], s[46:47], v[204:205]      // 0000000100DC: D3B04016 1F305D16
	v_exp_f32_e32 v20, v20                                     // 0000000100E4: 7E284114
	v_exp_f32_e32 v21, v21                                     // 0000000100E8: 7E2A4115
	v_exp_f32_e32 v22, v22                                     // 0000000100EC: 7E2C4116
	v_exp_f32_e32 v23, v23                                     // 0000000100F0: 7E2E4117
	v_pk_fma_f32 v[24:25], v[24:25], s[46:47], v[204:205]      // 0000000100F4: D3B04018 1F305D18
	v_pk_fma_f32 v[26:27], v[26:27], s[46:47], v[204:205]      // 0000000100FC: D3B0401A 1F305D1A
	v_exp_f32_e32 v24, v24                                     // 000000010104: 7E304118
	v_exp_f32_e32 v25, v25                                     // 000000010108: 7E324119
	v_exp_f32_e32 v26, v26                                     // 00000001010C: 7E34411A
	v_exp_f32_e32 v27, v27                                     // 000000010110: 7E36411B
	v_pk_fma_f32 v[28:29], v[28:29], s[46:47], v[204:205]      // 000000010114: D3B0401C 1F305D1C
	v_pk_fma_f32 v[30:31], v[30:31], s[46:47], v[204:205]      // 00000001011C: D3B0401E 1F305D1E
	v_exp_f32_e32 v28, v28                                     // 000000010124: 7E38411C
	v_exp_f32_e32 v29, v29                                     // 000000010128: 7E3A411D
	v_exp_f32_e32 v30, v30                                     // 00000001012C: 7E3C411E
	v_exp_f32_e32 v31, v31                                     // 000000010130: 7E3E411F
	v_pk_fma_f32 v[32:33], v[32:33], s[46:47], v[204:205]      // 000000010134: D3B04020 1F305D20
	v_pk_fma_f32 v[34:35], v[34:35], s[46:47], v[204:205]      // 00000001013C: D3B04022 1F305D22
	v_exp_f32_e32 v32, v32                                     // 000000010144: 7E404120
	v_exp_f32_e32 v33, v33                                     // 000000010148: 7E424121
	v_exp_f32_e32 v34, v34                                     // 00000001014C: 7E444122
	v_exp_f32_e32 v35, v35                                     // 000000010150: 7E464123
	v_max_f32_e32 v169, v184, v166                             // 000000010154: 17534DB8
	v_mul_f32_e64 v204, -s46, v169                             // 000000010158: D10500CC 2003522E
	v_mov_b32_e32 v205, v204                                   // 000000010160: 7F9A03CC
	v_pk_fma_f32 v[36:37], v[36:37], s[46:47], v[204:205]      // 000000010164: D3B04024 1F305D24
	v_pk_fma_f32 v[38:39], v[38:39], s[46:47], v[204:205]      // 00000001016C: D3B04026 1F305D26
	v_exp_f32_e32 v36, v36                                     // 000000010174: 7E484124
	v_exp_f32_e32 v37, v37                                     // 000000010178: 7E4A4125
	v_exp_f32_e32 v38, v38                                     // 00000001017C: 7E4C4126
	v_exp_f32_e32 v39, v39                                     // 000000010180: 7E4E4127
	v_pk_fma_f32 v[40:41], v[40:41], s[46:47], v[204:205]      // 000000010184: D3B04028 1F305D28
	v_pk_fma_f32 v[42:43], v[42:43], s[46:47], v[204:205]      // 00000001018C: D3B0402A 1F305D2A
	v_exp_f32_e32 v40, v40                                     // 000000010194: 7E504128
	v_exp_f32_e32 v41, v41                                     // 000000010198: 7E524129
	v_exp_f32_e32 v42, v42                                     // 00000001019C: 7E54412A
	v_exp_f32_e32 v43, v43                                     // 0000000101A0: 7E56412B
	v_pk_fma_f32 v[44:45], v[44:45], s[46:47], v[204:205]      // 0000000101A4: D3B0402C 1F305D2C
	v_pk_fma_f32 v[46:47], v[46:47], s[46:47], v[204:205]      // 0000000101AC: D3B0402E 1F305D2E
	v_exp_f32_e32 v44, v44                                     // 0000000101B4: 7E58412C
	v_exp_f32_e32 v45, v45                                     // 0000000101B8: 7E5A412D
	v_exp_f32_e32 v46, v46                                     // 0000000101BC: 7E5C412E
	v_exp_f32_e32 v47, v47                                     // 0000000101C0: 7E5E412F
	v_pk_fma_f32 v[48:49], v[48:49], s[46:47], v[204:205]      // 0000000101C4: D3B04030 1F305D30
	v_pk_fma_f32 v[50:51], v[50:51], s[46:47], v[204:205]      // 0000000101CC: D3B04032 1F305D32
	v_exp_f32_e32 v48, v48                                     // 0000000101D4: 7E604130
	v_exp_f32_e32 v49, v49                                     // 0000000101D8: 7E624131
	v_exp_f32_e32 v50, v50                                     // 0000000101DC: 7E644132
	v_exp_f32_e32 v51, v51                                     // 0000000101E0: 7E664133
	v_mul_f32_dpp v52, v156, v4 row_newbcast:0 row_mask:0xf bank_mask:0xf// 0000000101E4: 0A6808FA FF01509C
	v_mul_f32_dpp v53, v156, v5 row_newbcast:1 row_mask:0xf bank_mask:0xf// 0000000101EC: 0A6A0AFA FF01519C
	v_mul_f32_dpp v54, v156, v6 row_newbcast:2 row_mask:0xf bank_mask:0xf// 0000000101F4: 0A6C0CFA FF01529C
	v_mul_f32_dpp v55, v156, v7 row_newbcast:3 row_mask:0xf bank_mask:0xf// 0000000101FC: 0A6E0EFA FF01539C
	v_mul_f32_dpp v56, v156, v8 row_newbcast:4 row_mask:0xf bank_mask:0xf// 000000010204: 0A7010FA FF01549C
	v_mul_f32_dpp v57, v156, v9 row_newbcast:5 row_mask:0xf bank_mask:0xf// 00000001020C: 0A7212FA FF01559C
	v_mul_f32_dpp v58, v156, v10 row_newbcast:6 row_mask:0xf bank_mask:0xf// 000000010214: 0A7414FA FF01569C
	v_mul_f32_dpp v59, v156, v11 row_newbcast:7 row_mask:0xf bank_mask:0xf// 00000001021C: 0A7616FA FF01579C
	v_mul_f32_dpp v60, v156, v12 row_newbcast:8 row_mask:0xf bank_mask:0xf// 000000010224: 0A7818FA FF01589C
	v_mul_f32_dpp v61, v156, v13 row_newbcast:9 row_mask:0xf bank_mask:0xf// 00000001022C: 0A7A1AFA FF01599C
	v_mul_f32_dpp v62, v156, v14 row_newbcast:10 row_mask:0xf bank_mask:0xf// 000000010234: 0A7C1CFA FF015A9C
	v_mul_f32_dpp v63, v156, v15 row_newbcast:11 row_mask:0xf bank_mask:0xf// 00000001023C: 0A7E1EFA FF015B9C
	v_mul_f32_dpp v64, v156, v16 row_newbcast:12 row_mask:0xf bank_mask:0xf// 000000010244: 0A8020FA FF015C9C
	v_mul_f32_dpp v65, v156, v17 row_newbcast:13 row_mask:0xf bank_mask:0xf// 00000001024C: 0A8222FA FF015D9C
	v_mul_f32_dpp v66, v156, v18 row_newbcast:14 row_mask:0xf bank_mask:0xf// 000000010254: 0A8424FA FF015E9C
	v_mul_f32_dpp v67, v156, v19 row_newbcast:15 row_mask:0xf bank_mask:0xf// 00000001025C: 0A8626FA FF015F9C
	v_mul_f32_dpp v68, v156, v20 row_newbcast:0 row_mask:0xf bank_mask:0xf// 000000010264: 0A8828FA FF01509C
	v_mul_f32_dpp v69, v156, v21 row_newbcast:1 row_mask:0xf bank_mask:0xf// 00000001026C: 0A8A2AFA FF01519C
	v_mul_f32_dpp v70, v156, v22 row_newbcast:2 row_mask:0xf bank_mask:0xf// 000000010274: 0A8C2CFA FF01529C
	v_mul_f32_dpp v71, v156, v23 row_newbcast:3 row_mask:0xf bank_mask:0xf// 00000001027C: 0A8E2EFA FF01539C
	v_mul_f32_dpp v72, v156, v24 row_newbcast:4 row_mask:0xf bank_mask:0xf// 000000010284: 0A9030FA FF01549C
	v_mul_f32_dpp v73, v156, v25 row_newbcast:5 row_mask:0xf bank_mask:0xf// 00000001028C: 0A9232FA FF01559C
	v_mul_f32_dpp v74, v156, v26 row_newbcast:6 row_mask:0xf bank_mask:0xf// 000000010294: 0A9434FA FF01569C
	v_mul_f32_dpp v75, v156, v27 row_newbcast:7 row_mask:0xf bank_mask:0xf// 00000001029C: 0A9636FA FF01579C
	v_mul_f32_dpp v76, v156, v28 row_newbcast:8 row_mask:0xf bank_mask:0xf// 0000000102A4: 0A9838FA FF01589C
	v_mul_f32_dpp v77, v156, v29 row_newbcast:9 row_mask:0xf bank_mask:0xf// 0000000102AC: 0A9A3AFA FF01599C
	v_mul_f32_dpp v78, v156, v30 row_newbcast:10 row_mask:0xf bank_mask:0xf// 0000000102B4: 0A9C3CFA FF015A9C
	v_mul_f32_dpp v79, v156, v31 row_newbcast:11 row_mask:0xf bank_mask:0xf// 0000000102BC: 0A9E3EFA FF015B9C
	v_mul_f32_dpp v80, v156, v32 row_newbcast:12 row_mask:0xf bank_mask:0xf// 0000000102C4: 0AA040FA FF015C9C
	v_mul_f32_dpp v81, v156, v33 row_newbcast:13 row_mask:0xf bank_mask:0xf// 0000000102CC: 0AA242FA FF015D9C
	v_mul_f32_dpp v82, v156, v34 row_newbcast:14 row_mask:0xf bank_mask:0xf// 0000000102D4: 0AA444FA FF015E9C
	v_mul_f32_dpp v83, v156, v35 row_newbcast:15 row_mask:0xf bank_mask:0xf// 0000000102DC: 0AA646FA FF015F9C
	v_mul_f32_dpp v84, v156, v36 row_newbcast:0 row_mask:0xf bank_mask:0xf// 0000000102E4: 0AA848FA FF01509C
	v_mul_f32_dpp v85, v156, v37 row_newbcast:1 row_mask:0xf bank_mask:0xf// 0000000102EC: 0AAA4AFA FF01519C
	v_mul_f32_dpp v86, v156, v38 row_newbcast:2 row_mask:0xf bank_mask:0xf// 0000000102F4: 0AAC4CFA FF01529C
	v_mul_f32_dpp v87, v156, v39 row_newbcast:3 row_mask:0xf bank_mask:0xf// 0000000102FC: 0AAE4EFA FF01539C
	v_mul_f32_dpp v88, v156, v40 row_newbcast:4 row_mask:0xf bank_mask:0xf// 000000010304: 0AB050FA FF01549C
	v_mul_f32_dpp v89, v156, v41 row_newbcast:5 row_mask:0xf bank_mask:0xf// 00000001030C: 0AB252FA FF01559C
	v_mul_f32_dpp v90, v156, v42 row_newbcast:6 row_mask:0xf bank_mask:0xf// 000000010314: 0AB454FA FF01569C
	v_mul_f32_dpp v91, v156, v43 row_newbcast:7 row_mask:0xf bank_mask:0xf// 00000001031C: 0AB656FA FF01579C
	v_mul_f32_dpp v92, v156, v44 row_newbcast:8 row_mask:0xf bank_mask:0xf// 000000010324: 0AB858FA FF01589C
	v_mul_f32_dpp v93, v156, v45 row_newbcast:9 row_mask:0xf bank_mask:0xf// 00000001032C: 0ABA5AFA FF01599C
	v_mul_f32_dpp v94, v156, v46 row_newbcast:10 row_mask:0xf bank_mask:0xf// 000000010334: 0ABC5CFA FF015A9C
	v_mul_f32_dpp v95, v156, v47 row_newbcast:11 row_mask:0xf bank_mask:0xf// 00000001033C: 0ABE5EFA FF015B9C
	v_mul_f32_dpp v96, v156, v48 row_newbcast:12 row_mask:0xf bank_mask:0xf// 000000010344: 0AC060FA FF015C9C
	v_mul_f32_dpp v97, v156, v49 row_newbcast:13 row_mask:0xf bank_mask:0xf// 00000001034C: 0AC262FA FF015D9C
	v_mul_f32_dpp v98, v156, v50 row_newbcast:14 row_mask:0xf bank_mask:0xf// 000000010354: 0AC464FA FF015E9C
	v_mul_f32_dpp v99, v156, v51 row_newbcast:15 row_mask:0xf bank_mask:0xf// 00000001035C: 0AC666FA FF015F9C
	v_add_u32_e32 v204, s64, v221                              // 000000010364: 6999BA40
	v_add_u32_e32 v205, 0, v204                                // 000000010368: 699B9880
	v_cmp_lt_u32_e32 vcc, v205, v218                           // 00000001036C: 7D93B5CD
	v_cndmask_b32_e32 v52, 0, v52, vcc                         // 000000010370: 00686880
	v_cmp_lt_u32_e32 vcc, v205, v219                           // 000000010374: 7D93B7CD
	v_cndmask_b32_e32 v68, 0, v68, vcc                         // 000000010378: 00888880
	v_cmp_lt_u32_e32 vcc, v205, v220                           // 00000001037C: 7D93B9CD
	v_cndmask_b32_e32 v84, 0, v84, vcc                         // 000000010380: 00A8A880
	v_add_u32_e32 v205, 1, v204                                // 000000010384: 699B9881
	v_cmp_lt_u32_e32 vcc, v205, v218                           // 000000010388: 7D93B5CD
	v_cndmask_b32_e32 v53, 0, v53, vcc                         // 00000001038C: 006A6A80
	v_cmp_lt_u32_e32 vcc, v205, v219                           // 000000010390: 7D93B7CD
	v_cndmask_b32_e32 v69, 0, v69, vcc                         // 000000010394: 008A8A80
	v_cmp_lt_u32_e32 vcc, v205, v220                           // 000000010398: 7D93B9CD
	v_cndmask_b32_e32 v85, 0, v85, vcc                         // 00000001039C: 00AAAA80
	v_add_u32_e32 v205, 2, v204                                // 0000000103A0: 699B9882
	v_cmp_lt_u32_e32 vcc, v205, v218                           // 0000000103A4: 7D93B5CD
	v_cndmask_b32_e32 v54, 0, v54, vcc                         // 0000000103A8: 006C6C80
	v_cmp_lt_u32_e32 vcc, v205, v219                           // 0000000103AC: 7D93B7CD
	v_cndmask_b32_e32 v70, 0, v70, vcc                         // 0000000103B0: 008C8C80
	v_cmp_lt_u32_e32 vcc, v205, v220                           // 0000000103B4: 7D93B9CD
	v_cndmask_b32_e32 v86, 0, v86, vcc                         // 0000000103B8: 00ACAC80
	v_add_u32_e32 v205, 3, v204                                // 0000000103BC: 699B9883
	v_cmp_lt_u32_e32 vcc, v205, v218                           // 0000000103C0: 7D93B5CD
	v_cndmask_b32_e32 v55, 0, v55, vcc                         // 0000000103C4: 006E6E80
	v_cmp_lt_u32_e32 vcc, v205, v219                           // 0000000103C8: 7D93B7CD
	v_cndmask_b32_e32 v71, 0, v71, vcc                         // 0000000103CC: 008E8E80
	v_cmp_lt_u32_e32 vcc, v205, v220                           // 0000000103D0: 7D93B9CD
	v_cndmask_b32_e32 v87, 0, v87, vcc                         // 0000000103D4: 00AEAE80
	v_add_u32_e32 v205, 64, v204                               // 0000000103D8: 699B98C0
	v_cmp_lt_u32_e32 vcc, v205, v218                           // 0000000103DC: 7D93B5CD
	v_cndmask_b32_e32 v56, 0, v56, vcc                         // 0000000103E0: 00707080
	v_cmp_lt_u32_e32 vcc, v205, v219                           // 0000000103E4: 7D93B7CD
	v_cndmask_b32_e32 v72, 0, v72, vcc                         // 0000000103E8: 00909080
	v_cmp_lt_u32_e32 vcc, v205, v220                           // 0000000103EC: 7D93B9CD
	v_cndmask_b32_e32 v88, 0, v88, vcc                         // 0000000103F0: 00B0B080
	v_add_u32_e32 v205, 0x41, v204                             // 0000000103F4: 699B98FF 00000041
	v_cmp_lt_u32_e32 vcc, v205, v218                           // 0000000103FC: 7D93B5CD
	v_cndmask_b32_e32 v57, 0, v57, vcc                         // 000000010400: 00727280
	v_cmp_lt_u32_e32 vcc, v205, v219                           // 000000010404: 7D93B7CD
	v_cndmask_b32_e32 v73, 0, v73, vcc                         // 000000010408: 00929280
	v_cmp_lt_u32_e32 vcc, v205, v220                           // 00000001040C: 7D93B9CD
	v_cndmask_b32_e32 v89, 0, v89, vcc                         // 000000010410: 00B2B280
	v_add_u32_e32 v205, 0x42, v204                             // 000000010414: 699B98FF 00000042
	v_cmp_lt_u32_e32 vcc, v205, v218                           // 00000001041C: 7D93B5CD
	v_cndmask_b32_e32 v58, 0, v58, vcc                         // 000000010420: 00747480
	v_cmp_lt_u32_e32 vcc, v205, v219                           // 000000010424: 7D93B7CD
	v_cndmask_b32_e32 v74, 0, v74, vcc                         // 000000010428: 00949480
	v_cmp_lt_u32_e32 vcc, v205, v220                           // 00000001042C: 7D93B9CD
	v_cndmask_b32_e32 v90, 0, v90, vcc                         // 000000010430: 00B4B480
	v_add_u32_e32 v205, 0x43, v204                             // 000000010434: 699B98FF 00000043
	v_cmp_lt_u32_e32 vcc, v205, v218                           // 00000001043C: 7D93B5CD
	v_cndmask_b32_e32 v59, 0, v59, vcc                         // 000000010440: 00767680
	v_cmp_lt_u32_e32 vcc, v205, v219                           // 000000010444: 7D93B7CD
	v_cndmask_b32_e32 v75, 0, v75, vcc                         // 000000010448: 00969680
	v_cmp_lt_u32_e32 vcc, v205, v220                           // 00000001044C: 7D93B9CD
	v_cndmask_b32_e32 v91, 0, v91, vcc                         // 000000010450: 00B6B680
	v_add_u32_e32 v205, 0x80, v204                             // 000000010454: 699B98FF 00000080
	v_cmp_lt_u32_e32 vcc, v205, v218                           // 00000001045C: 7D93B5CD
	v_cndmask_b32_e32 v60, 0, v60, vcc                         // 000000010460: 00787880
	v_cmp_lt_u32_e32 vcc, v205, v219                           // 000000010464: 7D93B7CD
	v_cndmask_b32_e32 v76, 0, v76, vcc                         // 000000010468: 00989880
	v_cmp_lt_u32_e32 vcc, v205, v220                           // 00000001046C: 7D93B9CD
	v_cndmask_b32_e32 v92, 0, v92, vcc                         // 000000010470: 00B8B880
	v_add_u32_e32 v205, 0x81, v204                             // 000000010474: 699B98FF 00000081
	v_cmp_lt_u32_e32 vcc, v205, v218                           // 00000001047C: 7D93B5CD
	v_cndmask_b32_e32 v61, 0, v61, vcc                         // 000000010480: 007A7A80
	v_cmp_lt_u32_e32 vcc, v205, v219                           // 000000010484: 7D93B7CD
	v_cndmask_b32_e32 v77, 0, v77, vcc                         // 000000010488: 009A9A80
	v_cmp_lt_u32_e32 vcc, v205, v220                           // 00000001048C: 7D93B9CD
	v_cndmask_b32_e32 v93, 0, v93, vcc                         // 000000010490: 00BABA80
	v_add_u32_e32 v205, 0x82, v204                             // 000000010494: 699B98FF 00000082
	v_cmp_lt_u32_e32 vcc, v205, v218                           // 00000001049C: 7D93B5CD
	v_cndmask_b32_e32 v62, 0, v62, vcc                         // 0000000104A0: 007C7C80
	v_cmp_lt_u32_e32 vcc, v205, v219                           // 0000000104A4: 7D93B7CD
	v_cndmask_b32_e32 v78, 0, v78, vcc                         // 0000000104A8: 009C9C80
	v_cmp_lt_u32_e32 vcc, v205, v220                           // 0000000104AC: 7D93B9CD
	v_cndmask_b32_e32 v94, 0, v94, vcc                         // 0000000104B0: 00BCBC80
	v_add_u32_e32 v205, 0x83, v204                             // 0000000104B4: 699B98FF 00000083
	v_cmp_lt_u32_e32 vcc, v205, v218                           // 0000000104BC: 7D93B5CD
	v_cndmask_b32_e32 v63, 0, v63, vcc                         // 0000000104C0: 007E7E80
	v_cmp_lt_u32_e32 vcc, v205, v219                           // 0000000104C4: 7D93B7CD
	v_cndmask_b32_e32 v79, 0, v79, vcc                         // 0000000104C8: 009E9E80
	v_cmp_lt_u32_e32 vcc, v205, v220                           // 0000000104CC: 7D93B9CD
	v_cndmask_b32_e32 v95, 0, v95, vcc                         // 0000000104D0: 00BEBE80
	v_add_u32_e32 v205, 0xc0, v204                             // 0000000104D4: 699B98FF 000000C0
	v_cmp_lt_u32_e32 vcc, v205, v218                           // 0000000104DC: 7D93B5CD
	v_cndmask_b32_e32 v64, 0, v64, vcc                         // 0000000104E0: 00808080
	v_cmp_lt_u32_e32 vcc, v205, v219                           // 0000000104E4: 7D93B7CD
	v_cndmask_b32_e32 v80, 0, v80, vcc                         // 0000000104E8: 00A0A080
	v_cmp_lt_u32_e32 vcc, v205, v220                           // 0000000104EC: 7D93B9CD
	v_cndmask_b32_e32 v96, 0, v96, vcc                         // 0000000104F0: 00C0C080
	v_add_u32_e32 v205, 0xc1, v204                             // 0000000104F4: 699B98FF 000000C1
	v_cmp_lt_u32_e32 vcc, v205, v218                           // 0000000104FC: 7D93B5CD
	v_cndmask_b32_e32 v65, 0, v65, vcc                         // 000000010500: 00828280
	v_cmp_lt_u32_e32 vcc, v205, v219                           // 000000010504: 7D93B7CD
	v_cndmask_b32_e32 v81, 0, v81, vcc                         // 000000010508: 00A2A280
	v_cmp_lt_u32_e32 vcc, v205, v220                           // 00000001050C: 7D93B9CD
	v_cndmask_b32_e32 v97, 0, v97, vcc                         // 000000010510: 00C2C280
	v_add_u32_e32 v205, 0xc2, v204                             // 000000010514: 699B98FF 000000C2
	v_cmp_lt_u32_e32 vcc, v205, v218                           // 00000001051C: 7D93B5CD
	v_cndmask_b32_e32 v66, 0, v66, vcc                         // 000000010520: 00848480
	v_cmp_lt_u32_e32 vcc, v205, v219                           // 000000010524: 7D93B7CD
	v_cndmask_b32_e32 v82, 0, v82, vcc                         // 000000010528: 00A4A480
	v_cmp_lt_u32_e32 vcc, v205, v220                           // 00000001052C: 7D93B9CD
	v_cndmask_b32_e32 v98, 0, v98, vcc                         // 000000010530: 00C4C480
	v_add_u32_e32 v205, 0xc3, v204                             // 000000010534: 699B98FF 000000C3
	v_cmp_lt_u32_e32 vcc, v205, v218                           // 00000001053C: 7D93B5CD
	v_cndmask_b32_e32 v67, 0, v67, vcc                         // 000000010540: 00868680
	v_cmp_lt_u32_e32 vcc, v205, v219                           // 000000010544: 7D93B7CD
	v_cndmask_b32_e32 v83, 0, v83, vcc                         // 000000010548: 00A6A680
	v_cmp_lt_u32_e32 vcc, v205, v220                           // 00000001054C: 7D93B9CD
	v_cndmask_b32_e32 v99, 0, v99, vcc                         // 000000010550: 00C6C680
	buffer_load_dword v155, v235, s[20:23], 0 offen            // 000000010554: E0501000 80059BEB
	v_sub_f32_e32 v170, v164, v167                             // 00000001055C: 05554FA4
	v_cmp_eq_u32_e64 s[98:99], v222, v164                      // 000000010560: D0CA0062 000349DE
	v_cndmask_b32_e64 v170, v170, 0, s[98:99]                  // 000000010568: D10000AA 018901AA
	v_mov_b32_e32 v164, v167                                   // 000000010570: 7F4803A7
	v_mul_f32_e32 v170, s46, v170                              // 000000010574: 0B55542E
	v_exp_f32_e32 v170, v170                                   // 000000010578: 7F5441AA
	v_sub_f32_e32 v172, v165, v168                             // 00000001057C: 055951A5
	v_cmp_eq_u32_e64 s[98:99], v222, v165                      // 000000010580: D0CA0062 00034BDE
	v_cndmask_b32_e64 v172, v172, 0, s[98:99]                  // 000000010588: D10000AC 018901AC
	v_mov_b32_e32 v165, v168                                   // 000000010590: 7F4A03A8
	v_mul_f32_e32 v172, s46, v172                              // 000000010594: 0B59582E
	v_exp_f32_e32 v172, v172                                   // 000000010598: 7F5841AC
	v_sub_f32_e32 v174, v166, v169                             // 00000001059C: 055D53A6
	v_cmp_eq_u32_e64 s[98:99], v222, v166                      // 0000000105A0: D0CA0062 00034DDE
	v_cndmask_b32_e64 v174, v174, 0, s[98:99]                  // 0000000105A8: D10000AE 018901AE
	v_mov_b32_e32 v166, v169                                   // 0000000105B0: 7F4C03A9
	v_mul_f32_e32 v174, s46, v174                              // 0000000105B4: 0B5D5C2E
	v_exp_f32_e32 v174, v174                                   // 0000000105B8: 7F5C41AE
	v_mov_b32_e32 v171, v170                                   // 0000000105BC: 7F5603AA
	v_mov_b32_e32 v173, v172                                   // 0000000105C0: 7F5A03AC
	v_mov_b32_e32 v175, v174                                   // 0000000105C4: 7F5E03AE
	s_waitcnt lgkmcnt(0)                                       // 0000000105C8: BF8CC07F
	s_barrier                                                  // 0000000105CC: BF8A0000
	buffer_load_dword v157, v236, s[24:27], 0 offen            // 0000000105D0: E0501000 80069DEC
	v_mul_f32_e32 v176, v170, v176                             // 0000000105D8: 0B6161AA
	v_mov_b32_e32 v177, 0                                      // 0000000105DC: 7F620280
	v_pk_add_f32 v[176:177], v[4:5], v[176:177]                // 0000000105E0: D3B240B0 18036104
	v_pk_add_f32 v[176:177], v[6:7], v[176:177]                // 0000000105E8: D3B240B0 18036106
	v_pk_add_f32 v[176:177], v[8:9], v[176:177]                // 0000000105F0: D3B240B0 18036108
	v_pk_add_f32 v[176:177], v[10:11], v[176:177]              // 0000000105F8: D3B240B0 1803610A
	v_pk_add_f32 v[176:177], v[12:13], v[176:177]              // 000000010600: D3B240B0 1803610C
	v_pk_add_f32 v[176:177], v[14:15], v[176:177]              // 000000010608: D3B240B0 1803610E
	v_pk_add_f32 v[176:177], v[16:17], v[176:177]              // 000000010610: D3B240B0 18036110
	v_pk_add_f32 v[176:177], v[18:19], v[176:177]              // 000000010618: D3B240B0 18036112
	v_add_f32_e32 v176, v177, v176                             // 000000010620: 036161B1
	v_mul_f32_e32 v178, v172, v178                             // 000000010624: 0B6565AC
	v_mov_b32_e32 v179, 0                                      // 000000010628: 7F660280
	v_pk_add_f32 v[178:179], v[20:21], v[178:179]              // 00000001062C: D3B240B2 18036514
	v_pk_add_f32 v[178:179], v[22:23], v[178:179]              // 000000010634: D3B240B2 18036516
	v_pk_add_f32 v[178:179], v[24:25], v[178:179]              // 00000001063C: D3B240B2 18036518
	v_pk_add_f32 v[178:179], v[26:27], v[178:179]              // 000000010644: D3B240B2 1803651A
	v_pk_add_f32 v[178:179], v[28:29], v[178:179]              // 00000001064C: D3B240B2 1803651C
	v_pk_add_f32 v[178:179], v[30:31], v[178:179]              // 000000010654: D3B240B2 1803651E
	v_pk_add_f32 v[178:179], v[32:33], v[178:179]              // 00000001065C: D3B240B2 18036520
	v_pk_add_f32 v[178:179], v[34:35], v[178:179]              // 000000010664: D3B240B2 18036522
	v_add_f32_e32 v178, v179, v178                             // 00000001066C: 036565B3
	v_mul_f32_e32 v180, v174, v180                             // 000000010670: 0B6969AE
	v_mov_b32_e32 v181, 0                                      // 000000010674: 7F6A0280
	v_pk_add_f32 v[180:181], v[36:37], v[180:181]              // 000000010678: D3B240B4 18036924
	v_pk_add_f32 v[180:181], v[38:39], v[180:181]              // 000000010680: D3B240B4 18036926
	;; [unrolled: 1-line block ×3, first 2 shown]
	v_pk_add_f32 v[180:181], v[42:43], v[180:181]              // 000000010690: D3B240B4 1803692A
	v_pk_add_f32 v[180:181], v[44:45], v[180:181]              // 000000010698: D3B240B4 1803692C
	v_pk_add_f32 v[180:181], v[46:47], v[180:181]              // 0000000106A0: D3B240B4 1803692E
	v_pk_add_f32 v[180:181], v[48:49], v[180:181]              // 0000000106A8: D3B240B4 18036930
	v_pk_add_f32 v[180:181], v[50:51], v[180:181]              // 0000000106B0: D3B240B4 18036932
	v_add_f32_e32 v180, v181, v180                             // 0000000106B8: 036969B5
	s_waitcnt lgkmcnt(0)                                       // 0000000106BC: BF8CC07F
	v_sub_f32_e32 v182, v182, v164                             // 0000000106C0: 056D49B6
	v_sub_f32_e32 v183, v183, v165                             // 0000000106C4: 056F4BB7
	v_sub_f32_e32 v184, v184, v166                             // 0000000106C8: 05714DB8
	v_mul_f32_e32 v182, s46, v182                              // 0000000106CC: 0B6D6C2E
	v_mul_f32_e32 v183, s46, v183                              // 0000000106D0: 0B6F6E2E
	v_mul_f32_e32 v184, s46, v184                              // 0000000106D4: 0B71702E
	v_exp_f32_e32 v182, v182                                   // 0000000106D8: 7F6C41B6
	v_exp_f32_e32 v183, v183                                   // 0000000106DC: 7F6E41B7
	v_exp_f32_e32 v184, v184                                   // 0000000106E0: 7F7041B8
	v_mul_f32_e32 v182, v156, v182                             // 0000000106E4: 0B6D6D9C
	v_mul_f32_e32 v183, v156, v183                             // 0000000106E8: 0B6F6F9C
	v_mul_f32_e32 v184, v156, v184                             // 0000000106EC: 0B71719C
	v_add_f32_e32 v182, 0x3089705f, v182                       // 0000000106F0: 036D6CFF 3089705F
	v_add_f32_e32 v183, 0x3089705f, v183                       // 0000000106F8: 036F6EFF 3089705F
	v_add_f32_e32 v184, 0x3089705f, v184                       // 000000010700: 037170FF 3089705F
	v_rcp_f32_e32 v182, v182                                   // 000000010708: 7F6C45B6
	v_rcp_f32_e32 v183, v183                                   // 00000001070C: 7F6E45B7
	v_rcp_f32_e32 v184, v184                                   // 000000010710: 7F7045B8
	v_mul_f32_e32 v182, 0x43700000, v182                       // 000000010714: 0B6D6CFF 43700000
	v_mul_f32_e32 v183, 0x43700000, v183                       // 00000001071C: 0B6F6EFF 43700000
	v_mul_f32_e32 v184, 0x43700000, v184                       // 000000010724: 0B7170FF 43700000
	v_mov_b32_e32 v186, v184                                   // 00000001072C: 7F7403B8
	v_mov_b32_e32 v187, v184                                   // 000000010730: 7F7603B8
	v_mov_b32_e32 v184, v183                                   // 000000010734: 7F7003B7
	v_mov_b32_e32 v185, v183                                   // 000000010738: 7F7203B7
	v_mov_b32_e32 v183, v182                                   // 00000001073C: 7F6E03B6
	v_pk_mul_f32 v[4:5], v[182:183], v[52:53]                  // 000000010740: D3B14004 180269B6
	v_pk_mul_f32 v[6:7], v[182:183], v[54:55]                  // 000000010748: D3B14006 18026DB6
	v_pk_mul_f32 v[8:9], v[182:183], v[56:57]                  // 000000010750: D3B14008 180271B6
	v_pk_mul_f32 v[10:11], v[182:183], v[58:59]                // 000000010758: D3B1400A 180275B6
	v_pk_mul_f32 v[12:13], v[182:183], v[60:61]                // 000000010760: D3B1400C 180279B6
	v_pk_mul_f32 v[14:15], v[182:183], v[62:63]                // 000000010768: D3B1400E 18027DB6
	v_pk_mul_f32 v[16:17], v[182:183], v[64:65]                // 000000010770: D3B14010 180281B6
	v_pk_mul_f32 v[18:19], v[182:183], v[66:67]                // 000000010778: D3B14012 180285B6
	v_pk_mul_f32 v[20:21], v[184:185], v[68:69]                // 000000010780: D3B14014 180289B8
	v_pk_mul_f32 v[22:23], v[184:185], v[70:71]                // 000000010788: D3B14016 18028DB8
	v_pk_mul_f32 v[24:25], v[184:185], v[72:73]                // 000000010790: D3B14018 180291B8
	v_pk_mul_f32 v[26:27], v[184:185], v[74:75]                // 000000010798: D3B1401A 180295B8
	v_pk_mul_f32 v[28:29], v[184:185], v[76:77]                // 0000000107A0: D3B1401C 180299B8
	v_pk_mul_f32 v[30:31], v[184:185], v[78:79]                // 0000000107A8: D3B1401E 18029DB8
	v_pk_mul_f32 v[32:33], v[184:185], v[80:81]                // 0000000107B0: D3B14020 1802A1B8
	v_pk_mul_f32 v[34:35], v[184:185], v[82:83]                // 0000000107B8: D3B14022 1802A5B8
	v_pk_mul_f32 v[36:37], v[186:187], v[84:85]                // 0000000107C0: D3B14024 1802A9BA
	v_pk_mul_f32 v[38:39], v[186:187], v[86:87]                // 0000000107C8: D3B14026 1802ADBA
	v_pk_mul_f32 v[40:41], v[186:187], v[88:89]                // 0000000107D0: D3B14028 1802B1BA
	v_pk_mul_f32 v[42:43], v[186:187], v[90:91]                // 0000000107D8: D3B1402A 1802B5BA
	v_pk_mul_f32 v[44:45], v[186:187], v[92:93]                // 0000000107E0: D3B1402C 1802B9BA
	v_pk_mul_f32 v[46:47], v[186:187], v[94:95]                // 0000000107E8: D3B1402E 1802BDBA
	v_pk_mul_f32 v[48:49], v[186:187], v[96:97]                // 0000000107F0: D3B14030 1802C1BA
	v_pk_mul_f32 v[50:51], v[186:187], v[98:99]                // 0000000107F8: D3B14032 1802C5BA
	v_cvt_pk_fp8_f32 v4, v4, v5                                // 000000010800: D2A20004 00020B04
	v_cvt_pk_fp8_f32 v4, v6, v7 op_sel:[0,0,1]                 // 000000010808: D2A24004 00020F06
	v_cvt_pk_fp8_f32 v5, v8, v9                                // 000000010810: D2A20005 00021308
	v_cvt_pk_fp8_f32 v5, v10, v11 op_sel:[0,0,1]               // 000000010818: D2A24005 0002170A
	v_cvt_pk_fp8_f32 v6, v12, v13                              // 000000010820: D2A20006 00021B0C
	v_cvt_pk_fp8_f32 v6, v14, v15 op_sel:[0,0,1]               // 000000010828: D2A24006 00021F0E
	v_cvt_pk_fp8_f32 v7, v16, v17                              // 000000010830: D2A20007 00022310
	v_cvt_pk_fp8_f32 v7, v18, v19 op_sel:[0,0,1]               // 000000010838: D2A24007 00022712
	v_cvt_pk_fp8_f32 v8, v20, v21                              // 000000010840: D2A20008 00022B14
	v_cvt_pk_fp8_f32 v8, v22, v23 op_sel:[0,0,1]               // 000000010848: D2A24008 00022F16
	v_cvt_pk_fp8_f32 v9, v24, v25                              // 000000010850: D2A20009 00023318
	v_cvt_pk_fp8_f32 v9, v26, v27 op_sel:[0,0,1]               // 000000010858: D2A24009 0002371A
	v_cvt_pk_fp8_f32 v10, v28, v29                             // 000000010860: D2A2000A 00023B1C
	v_cvt_pk_fp8_f32 v10, v30, v31 op_sel:[0,0,1]              // 000000010868: D2A2400A 00023F1E
	v_cvt_pk_fp8_f32 v11, v32, v33                             // 000000010870: D2A2000B 00024320
	v_cvt_pk_fp8_f32 v11, v34, v35 op_sel:[0,0,1]              // 000000010878: D2A2400B 00024722
	v_cvt_pk_fp8_f32 v12, v36, v37                             // 000000010880: D2A2000C 00024B24
	v_cvt_pk_fp8_f32 v12, v38, v39 op_sel:[0,0,1]              // 000000010888: D2A2400C 00024F26
	v_cvt_pk_fp8_f32 v13, v40, v41                             // 000000010890: D2A2000D 00025328
	v_cvt_pk_fp8_f32 v13, v42, v43 op_sel:[0,0,1]              // 000000010898: D2A2400D 0002572A
	v_cvt_pk_fp8_f32 v14, v44, v45                             // 0000000108A0: D2A2000E 00025B2C
	v_cvt_pk_fp8_f32 v14, v46, v47 op_sel:[0,0,1]              // 0000000108A8: D2A2400E 00025F2E
	v_cvt_pk_fp8_f32 v15, v48, v49                             // 0000000108B0: D2A2000F 00026330
	v_cvt_pk_fp8_f32 v15, v50, v51 op_sel:[0,0,1]              // 0000000108B8: D2A2400F 00026732
	ds_write_b32 v251, v4 offset:8192                          // 0000000108C0: D81A2000 000004FB
	ds_write_b32 v251, v5 offset:9216                          // 0000000108C8: D81A2400 000005FB
	ds_write_b32 v251, v6 offset:10240                         // 0000000108D0: D81A2800 000006FB
	ds_write_b32 v251, v7 offset:11264                         // 0000000108D8: D81A2C00 000007FB
	ds_write_b32 v251, v8 offset:12288                         // 0000000108E0: D81A3000 000008FB
	ds_write_b32 v251, v9 offset:13312                         // 0000000108E8: D81A3400 000009FB
	ds_write_b32 v251, v10 offset:14336                        // 0000000108F0: D81A3800 00000AFB
	ds_write_b32 v251, v11 offset:15360                        // 0000000108F8: D81A3C00 00000BFB
	ds_write_b32 v251, v12 offset:16384                        // 000000010900: D81A4000 00000CFB
	ds_write_b32 v251, v13 offset:17408                        // 000000010908: D81A4400 00000DFB
	ds_write_b32 v251, v14 offset:18432                        // 000000010910: D81A4800 00000EFB
	ds_write_b32 v251, v15 offset:19456                        // 000000010918: D81A4C00 00000FFB
	v_rcp_f32_e32 v158, v182                                   // 000000010920: 7F3C45B6
	v_rcp_f32_e32 v160, v184                                   // 000000010924: 7F4045B8
	v_rcp_f32_e32 v162, v186                                   // 000000010928: 7F4445BA
	v_mov_b32_e32 v159, v158                                   // 00000001092C: 7F3E039E
	v_mov_b32_e32 v161, v160                                   // 000000010930: 7F4203A0
	v_mov_b32_e32 v163, v162                                   // 000000010934: 7F4603A2
	v_pk_add_f32 v[124:125], v[124:125], v[100:101]            // 000000010938: D3B2407C 1802C97C
	v_pk_add_f32 v[126:127], v[126:127], v[102:103]            // 000000010940: D3B2407E 1802CD7E
	v_pk_add_f32 v[128:129], v[128:129], v[104:105]            // 000000010948: D3B24080 1802D180
	v_pk_add_f32 v[130:131], v[130:131], v[106:107]            // 000000010950: D3B24082 1802D582
	v_pk_add_f32 v[132:133], v[132:133], v[108:109]            // 000000010958: D3B24084 1802D984
	v_pk_add_f32 v[134:135], v[134:135], v[110:111]            // 000000010960: D3B24086 1802DD86
	v_pk_add_f32 v[136:137], v[136:137], v[112:113]            // 000000010968: D3B24088 1802E188
	v_pk_add_f32 v[138:139], v[138:139], v[114:115]            // 000000010970: D3B2408A 1802E58A
	v_pk_add_f32 v[140:141], v[140:141], v[116:117]            // 000000010978: D3B2408C 1802E98C
	v_pk_add_f32 v[142:143], v[142:143], v[118:119]            // 000000010980: D3B2408E 1802ED8E
	v_pk_add_f32 v[144:145], v[144:145], v[120:121]            // 000000010988: D3B24090 1802F190
	v_pk_add_f32 v[146:147], v[146:147], v[122:123]            // 000000010990: D3B24092 1802F592
	s_waitcnt lgkmcnt(0)                                       // 000000010998: BF8CC07F
	s_barrier                                                  // 00000001099C: BF8A0000
	ds_read_b128 v[4:7], v252 offset:8192                      // 0000000109A0: D9FE2000 040000FC
	ds_read_b128 v[8:11], v252 offset:9216                     // 0000000109A8: D9FE2400 080000FC
	ds_read_b128 v[12:15], v252 offset:10240                   // 0000000109B0: D9FE2800 0C0000FC
	ds_read_b128 v[16:19], v252 offset:11264                   // 0000000109B8: D9FE2C00 100000FC
	ds_read_b128 v[20:23], v252 offset:12288                   // 0000000109C0: D9FE3000 140000FC
	ds_read_b128 v[24:27], v252 offset:13312                   // 0000000109C8: D9FE3400 180000FC
	ds_read_b128 v[28:31], v252 offset:14336                   // 0000000109D0: D9FE3800 1C0000FC
	ds_read_b128 v[32:35], v252 offset:15360                   // 0000000109D8: D9FE3C00 200000FC
	ds_read_b128 v[36:39], v252 offset:16384                   // 0000000109E0: D9FE4000 240000FC
	ds_read_b128 v[40:43], v252 offset:17408                   // 0000000109E8: D9FE4400 280000FC
	ds_read_b128 v[44:47], v252 offset:18432                   // 0000000109F0: D9FE4800 2C0000FC
	ds_read_b128 v[48:51], v252 offset:19456                   // 0000000109F8: D9FE4C00 300000FC
	s_waitcnt vmcnt(10)                                        // 000000010A00: BF8C0F7A
	v_lshrrev_b32_e32 v211, 4, v0                              // 000000010A04: 21A60084
	v_lshlrev_b32_e32 v211, 4, v211                            // 000000010A08: 25A7A684
	v_add_u32_e32 v204, s64, v211                              // 000000010A0C: 6999A640
	v_add_u32_e32 v204, 4, v204                                // 000000010A10: 69999884
	v_sub_i32 v204, v204, s62                                  // 000000010A14: D29D00CC 00007DCC
	s_mov_b32 s54, 0                                           // 000000010A1C: BEB60080
	v_add_i32 v205, s54, v204                                  // 000000010A20: D29C00CD 00039836
	v_cmp_lt_i32_e64 vcc, v205, 4                              // 000000010A28: D0C1006A 000109CD
	v_min_u32_e32 v205, 4, v205                                // 000000010A30: 1D9B9A84
	v_lshlrev_b32_e32 v205, 3, v205                            // 000000010A34: 259B9A83
	v_lshrrev_b32_e64 v206, v205, -1                           // 000000010A38: D11000CE 000183CD
	v_accvgpr_read_b32 v207, a88                               // 000000010A40: D3D840CF 18000158
	v_cndmask_b32_e32 v207, 0, v207, vcc                       // 000000010A48: 019F9E80
	v_and_b32_e32 v207, v207, v206                             // 000000010A4C: 279F9DCF
	v_accvgpr_write_b32 a88, v207                              // 000000010A50: D3D94058 180001CF
	v_accvgpr_read_b32 v207, a104                              // 000000010A58: D3D840CF 18000168
	v_cndmask_b32_e32 v207, 0, v207, vcc                       // 000000010A60: 019F9E80
	v_and_b32_e32 v207, v207, v206                             // 000000010A64: 279F9DCF
	v_accvgpr_write_b32 a104, v207                             // 000000010A68: D3D94068 180001CF
	s_mov_b32 s54, 4                                           // 000000010A70: BEB60084
	v_add_i32 v205, s54, v204                                  // 000000010A74: D29C00CD 00039836
	v_cmp_lt_i32_e64 vcc, v205, 4                              // 000000010A7C: D0C1006A 000109CD
	v_min_u32_e32 v205, 4, v205                                // 000000010A84: 1D9B9A84
	v_lshlrev_b32_e32 v205, 3, v205                            // 000000010A88: 259B9A83
	v_lshrrev_b32_e64 v206, v205, -1                           // 000000010A8C: D11000CE 000183CD
	v_accvgpr_read_b32 v207, a89                               // 000000010A94: D3D840CF 18000159
	v_cndmask_b32_e32 v207, 0, v207, vcc                       // 000000010A9C: 019F9E80
	v_and_b32_e32 v207, v207, v206                             // 000000010AA0: 279F9DCF
	v_accvgpr_write_b32 a89, v207                              // 000000010AA4: D3D94059 180001CF
	v_accvgpr_read_b32 v207, a105                              // 000000010AAC: D3D840CF 18000169
	v_cndmask_b32_e32 v207, 0, v207, vcc                       // 000000010AB4: 019F9E80
	v_and_b32_e32 v207, v207, v206                             // 000000010AB8: 279F9DCF
	v_accvgpr_write_b32 a105, v207                             // 000000010ABC: D3D94069 180001CF
	s_mov_b32 s54, 8                                           // 000000010AC4: BEB60088
	v_add_i32 v205, s54, v204                                  // 000000010AC8: D29C00CD 00039836
	v_cmp_lt_i32_e64 vcc, v205, 4                              // 000000010AD0: D0C1006A 000109CD
	v_min_u32_e32 v205, 4, v205                                // 000000010AD8: 1D9B9A84
	v_lshlrev_b32_e32 v205, 3, v205                            // 000000010ADC: 259B9A83
	v_lshrrev_b32_e64 v206, v205, -1                           // 000000010AE0: D11000CE 000183CD
	v_accvgpr_read_b32 v207, a90                               // 000000010AE8: D3D840CF 1800015A
	v_cndmask_b32_e32 v207, 0, v207, vcc                       // 000000010AF0: 019F9E80
	v_and_b32_e32 v207, v207, v206                             // 000000010AF4: 279F9DCF
	v_accvgpr_write_b32 a90, v207                              // 000000010AF8: D3D9405A 180001CF
	v_accvgpr_read_b32 v207, a106                              // 000000010B00: D3D840CF 1800016A
	v_cndmask_b32_e32 v207, 0, v207, vcc                       // 000000010B08: 019F9E80
	v_and_b32_e32 v207, v207, v206                             // 000000010B0C: 279F9DCF
	v_accvgpr_write_b32 a106, v207                             // 000000010B10: D3D9406A 180001CF
	s_mov_b32 s54, 12                                          // 000000010B18: BEB6008C
	v_add_i32 v205, s54, v204                                  // 000000010B1C: D29C00CD 00039836
	v_cmp_lt_i32_e64 vcc, v205, 4                              // 000000010B24: D0C1006A 000109CD
	v_min_u32_e32 v205, 4, v205                                // 000000010B2C: 1D9B9A84
	v_lshlrev_b32_e32 v205, 3, v205                            // 000000010B30: 259B9A83
	v_lshrrev_b32_e64 v206, v205, -1                           // 000000010B34: D11000CE 000183CD
	v_accvgpr_read_b32 v207, a91                               // 000000010B3C: D3D840CF 1800015B
	v_cndmask_b32_e32 v207, 0, v207, vcc                       // 000000010B44: 019F9E80
	v_and_b32_e32 v207, v207, v206                             // 000000010B48: 279F9DCF
	v_accvgpr_write_b32 a91, v207                              // 000000010B4C: D3D9405B 180001CF
	v_accvgpr_read_b32 v207, a107                              // 000000010B54: D3D840CF 1800016B
	v_cndmask_b32_e32 v207, 0, v207, vcc                       // 000000010B5C: 019F9E80
	v_and_b32_e32 v207, v207, v206                             // 000000010B60: 279F9DCF
	v_accvgpr_write_b32 a107, v207                             // 000000010B64: D3D9406B 180001CF
	s_mov_b32 s54, 64                                          // 000000010B6C: BEB600C0
	v_add_i32 v205, s54, v204                                  // 000000010B70: D29C00CD 00039836
	v_cmp_lt_i32_e64 vcc, v205, 4                              // 000000010B78: D0C1006A 000109CD
	v_min_u32_e32 v205, 4, v205                                // 000000010B80: 1D9B9A84
	v_lshlrev_b32_e32 v205, 3, v205                            // 000000010B84: 259B9A83
	v_lshrrev_b32_e64 v206, v205, -1                           // 000000010B88: D11000CE 000183CD
	v_accvgpr_read_b32 v207, a92                               // 000000010B90: D3D840CF 1800015C
	v_cndmask_b32_e32 v207, 0, v207, vcc                       // 000000010B98: 019F9E80
	v_and_b32_e32 v207, v207, v206                             // 000000010B9C: 279F9DCF
	v_accvgpr_write_b32 a92, v207                              // 000000010BA0: D3D9405C 180001CF
	v_accvgpr_read_b32 v207, a108                              // 000000010BA8: D3D840CF 1800016C
	v_cndmask_b32_e32 v207, 0, v207, vcc                       // 000000010BB0: 019F9E80
	v_and_b32_e32 v207, v207, v206                             // 000000010BB4: 279F9DCF
	v_accvgpr_write_b32 a108, v207                             // 000000010BB8: D3D9406C 180001CF
	s_mov_b32 s54, 0x44                                        // 000000010BC0: BEB600FF 00000044
	v_add_i32 v205, s54, v204                                  // 000000010BC8: D29C00CD 00039836
	v_cmp_lt_i32_e64 vcc, v205, 4                              // 000000010BD0: D0C1006A 000109CD
	v_min_u32_e32 v205, 4, v205                                // 000000010BD8: 1D9B9A84
	v_lshlrev_b32_e32 v205, 3, v205                            // 000000010BDC: 259B9A83
	v_lshrrev_b32_e64 v206, v205, -1                           // 000000010BE0: D11000CE 000183CD
	v_accvgpr_read_b32 v207, a93                               // 000000010BE8: D3D840CF 1800015D
	v_cndmask_b32_e32 v207, 0, v207, vcc                       // 000000010BF0: 019F9E80
	v_and_b32_e32 v207, v207, v206                             // 000000010BF4: 279F9DCF
	v_accvgpr_write_b32 a93, v207                              // 000000010BF8: D3D9405D 180001CF
	v_accvgpr_read_b32 v207, a109                              // 000000010C00: D3D840CF 1800016D
	v_cndmask_b32_e32 v207, 0, v207, vcc                       // 000000010C08: 019F9E80
	v_and_b32_e32 v207, v207, v206                             // 000000010C0C: 279F9DCF
	v_accvgpr_write_b32 a109, v207                             // 000000010C10: D3D9406D 180001CF
	s_mov_b32 s54, 0x48                                        // 000000010C18: BEB600FF 00000048
	v_add_i32 v205, s54, v204                                  // 000000010C20: D29C00CD 00039836
	v_cmp_lt_i32_e64 vcc, v205, 4                              // 000000010C28: D0C1006A 000109CD
	v_min_u32_e32 v205, 4, v205                                // 000000010C30: 1D9B9A84
	v_lshlrev_b32_e32 v205, 3, v205                            // 000000010C34: 259B9A83
	v_lshrrev_b32_e64 v206, v205, -1                           // 000000010C38: D11000CE 000183CD
	v_accvgpr_read_b32 v207, a94                               // 000000010C40: D3D840CF 1800015E
	v_cndmask_b32_e32 v207, 0, v207, vcc                       // 000000010C48: 019F9E80
	v_and_b32_e32 v207, v207, v206                             // 000000010C4C: 279F9DCF
	v_accvgpr_write_b32 a94, v207                              // 000000010C50: D3D9405E 180001CF
	v_accvgpr_read_b32 v207, a110                              // 000000010C58: D3D840CF 1800016E
	v_cndmask_b32_e32 v207, 0, v207, vcc                       // 000000010C60: 019F9E80
	v_and_b32_e32 v207, v207, v206                             // 000000010C64: 279F9DCF
	v_accvgpr_write_b32 a110, v207                             // 000000010C68: D3D9406E 180001CF
	s_mov_b32 s54, 0x4c                                        // 000000010C70: BEB600FF 0000004C
	v_add_i32 v205, s54, v204                                  // 000000010C78: D29C00CD 00039836
	v_cmp_lt_i32_e64 vcc, v205, 4                              // 000000010C80: D0C1006A 000109CD
	v_min_u32_e32 v205, 4, v205                                // 000000010C88: 1D9B9A84
	v_lshlrev_b32_e32 v205, 3, v205                            // 000000010C8C: 259B9A83
	v_lshrrev_b32_e64 v206, v205, -1                           // 000000010C90: D11000CE 000183CD
	v_accvgpr_read_b32 v207, a95                               // 000000010C98: D3D840CF 1800015F
	v_cndmask_b32_e32 v207, 0, v207, vcc                       // 000000010CA0: 019F9E80
	v_and_b32_e32 v207, v207, v206                             // 000000010CA4: 279F9DCF
	v_accvgpr_write_b32 a95, v207                              // 000000010CA8: D3D9405F 180001CF
	v_accvgpr_read_b32 v207, a111                              // 000000010CB0: D3D840CF 1800016F
	v_cndmask_b32_e32 v207, 0, v207, vcc                       // 000000010CB8: 019F9E80
	v_and_b32_e32 v207, v207, v206                             // 000000010CBC: 279F9DCF
	v_accvgpr_write_b32 a111, v207                             // 000000010CC0: D3D9406F 180001CF
	s_mov_b32 s54, 0x80                                        // 000000010CC8: BEB600FF 00000080
	v_add_i32 v205, s54, v204                                  // 000000010CD0: D29C00CD 00039836
	v_cmp_lt_i32_e64 vcc, v205, 4                              // 000000010CD8: D0C1006A 000109CD
	v_min_u32_e32 v205, 4, v205                                // 000000010CE0: 1D9B9A84
	v_lshlrev_b32_e32 v205, 3, v205                            // 000000010CE4: 259B9A83
	v_lshrrev_b32_e64 v206, v205, -1                           // 000000010CE8: D11000CE 000183CD
	v_accvgpr_read_b32 v207, a96                               // 000000010CF0: D3D840CF 18000160
	v_cndmask_b32_e32 v207, 0, v207, vcc                       // 000000010CF8: 019F9E80
	v_and_b32_e32 v207, v207, v206                             // 000000010CFC: 279F9DCF
	v_accvgpr_write_b32 a96, v207                              // 000000010D00: D3D94060 180001CF
	v_accvgpr_read_b32 v207, a112                              // 000000010D08: D3D840CF 18000170
	v_cndmask_b32_e32 v207, 0, v207, vcc                       // 000000010D10: 019F9E80
	v_and_b32_e32 v207, v207, v206                             // 000000010D14: 279F9DCF
	v_accvgpr_write_b32 a112, v207                             // 000000010D18: D3D94070 180001CF
	s_mov_b32 s54, 0x84                                        // 000000010D20: BEB600FF 00000084
	v_add_i32 v205, s54, v204                                  // 000000010D28: D29C00CD 00039836
	v_cmp_lt_i32_e64 vcc, v205, 4                              // 000000010D30: D0C1006A 000109CD
	v_min_u32_e32 v205, 4, v205                                // 000000010D38: 1D9B9A84
	v_lshlrev_b32_e32 v205, 3, v205                            // 000000010D3C: 259B9A83
	v_lshrrev_b32_e64 v206, v205, -1                           // 000000010D40: D11000CE 000183CD
	v_accvgpr_read_b32 v207, a97                               // 000000010D48: D3D840CF 18000161
	v_cndmask_b32_e32 v207, 0, v207, vcc                       // 000000010D50: 019F9E80
	v_and_b32_e32 v207, v207, v206                             // 000000010D54: 279F9DCF
	v_accvgpr_write_b32 a97, v207                              // 000000010D58: D3D94061 180001CF
	v_accvgpr_read_b32 v207, a113                              // 000000010D60: D3D840CF 18000171
	v_cndmask_b32_e32 v207, 0, v207, vcc                       // 000000010D68: 019F9E80
	v_and_b32_e32 v207, v207, v206                             // 000000010D6C: 279F9DCF
	v_accvgpr_write_b32 a113, v207                             // 000000010D70: D3D94071 180001CF
	s_mov_b32 s54, 0x88                                        // 000000010D78: BEB600FF 00000088
	v_add_i32 v205, s54, v204                                  // 000000010D80: D29C00CD 00039836
	v_cmp_lt_i32_e64 vcc, v205, 4                              // 000000010D88: D0C1006A 000109CD
	v_min_u32_e32 v205, 4, v205                                // 000000010D90: 1D9B9A84
	v_lshlrev_b32_e32 v205, 3, v205                            // 000000010D94: 259B9A83
	v_lshrrev_b32_e64 v206, v205, -1                           // 000000010D98: D11000CE 000183CD
	v_accvgpr_read_b32 v207, a98                               // 000000010DA0: D3D840CF 18000162
	v_cndmask_b32_e32 v207, 0, v207, vcc                       // 000000010DA8: 019F9E80
	v_and_b32_e32 v207, v207, v206                             // 000000010DAC: 279F9DCF
	v_accvgpr_write_b32 a98, v207                              // 000000010DB0: D3D94062 180001CF
	v_accvgpr_read_b32 v207, a114                              // 000000010DB8: D3D840CF 18000172
	v_cndmask_b32_e32 v207, 0, v207, vcc                       // 000000010DC0: 019F9E80
	v_and_b32_e32 v207, v207, v206                             // 000000010DC4: 279F9DCF
	v_accvgpr_write_b32 a114, v207                             // 000000010DC8: D3D94072 180001CF
	s_mov_b32 s54, 0x8c                                        // 000000010DD0: BEB600FF 0000008C
	v_add_i32 v205, s54, v204                                  // 000000010DD8: D29C00CD 00039836
	v_cmp_lt_i32_e64 vcc, v205, 4                              // 000000010DE0: D0C1006A 000109CD
	v_min_u32_e32 v205, 4, v205                                // 000000010DE8: 1D9B9A84
	v_lshlrev_b32_e32 v205, 3, v205                            // 000000010DEC: 259B9A83
	v_lshrrev_b32_e64 v206, v205, -1                           // 000000010DF0: D11000CE 000183CD
	v_accvgpr_read_b32 v207, a99                               // 000000010DF8: D3D840CF 18000163
	v_cndmask_b32_e32 v207, 0, v207, vcc                       // 000000010E00: 019F9E80
	v_and_b32_e32 v207, v207, v206                             // 000000010E04: 279F9DCF
	v_accvgpr_write_b32 a99, v207                              // 000000010E08: D3D94063 180001CF
	v_accvgpr_read_b32 v207, a115                              // 000000010E10: D3D840CF 18000173
	v_cndmask_b32_e32 v207, 0, v207, vcc                       // 000000010E18: 019F9E80
	v_and_b32_e32 v207, v207, v206                             // 000000010E1C: 279F9DCF
	v_accvgpr_write_b32 a115, v207                             // 000000010E20: D3D94073 180001CF
	s_mov_b32 s54, 0xc0                                        // 000000010E28: BEB600FF 000000C0
	v_add_i32 v205, s54, v204                                  // 000000010E30: D29C00CD 00039836
	v_cmp_lt_i32_e64 vcc, v205, 4                              // 000000010E38: D0C1006A 000109CD
	v_min_u32_e32 v205, 4, v205                                // 000000010E40: 1D9B9A84
	v_lshlrev_b32_e32 v205, 3, v205                            // 000000010E44: 259B9A83
	v_lshrrev_b32_e64 v206, v205, -1                           // 000000010E48: D11000CE 000183CD
	v_accvgpr_read_b32 v207, a100                              // 000000010E50: D3D840CF 18000164
	v_cndmask_b32_e32 v207, 0, v207, vcc                       // 000000010E58: 019F9E80
	v_and_b32_e32 v207, v207, v206                             // 000000010E5C: 279F9DCF
	v_accvgpr_write_b32 a100, v207                             // 000000010E60: D3D94064 180001CF
	v_accvgpr_read_b32 v207, a116                              // 000000010E68: D3D840CF 18000174
	v_cndmask_b32_e32 v207, 0, v207, vcc                       // 000000010E70: 019F9E80
	v_and_b32_e32 v207, v207, v206                             // 000000010E74: 279F9DCF
	v_accvgpr_write_b32 a116, v207                             // 000000010E78: D3D94074 180001CF
	s_mov_b32 s54, 0xc4                                        // 000000010E80: BEB600FF 000000C4
	v_add_i32 v205, s54, v204                                  // 000000010E88: D29C00CD 00039836
	v_cmp_lt_i32_e64 vcc, v205, 4                              // 000000010E90: D0C1006A 000109CD
	v_min_u32_e32 v205, 4, v205                                // 000000010E98: 1D9B9A84
	v_lshlrev_b32_e32 v205, 3, v205                            // 000000010E9C: 259B9A83
	v_lshrrev_b32_e64 v206, v205, -1                           // 000000010EA0: D11000CE 000183CD
	v_accvgpr_read_b32 v207, a101                              // 000000010EA8: D3D840CF 18000165
	v_cndmask_b32_e32 v207, 0, v207, vcc                       // 000000010EB0: 019F9E80
	v_and_b32_e32 v207, v207, v206                             // 000000010EB4: 279F9DCF
	v_accvgpr_write_b32 a101, v207                             // 000000010EB8: D3D94065 180001CF
	v_accvgpr_read_b32 v207, a117                              // 000000010EC0: D3D840CF 18000175
	v_cndmask_b32_e32 v207, 0, v207, vcc                       // 000000010EC8: 019F9E80
	v_and_b32_e32 v207, v207, v206                             // 000000010ECC: 279F9DCF
	v_accvgpr_write_b32 a117, v207                             // 000000010ED0: D3D94075 180001CF
	s_mov_b32 s54, 0xc8                                        // 000000010ED8: BEB600FF 000000C8
	v_add_i32 v205, s54, v204                                  // 000000010EE0: D29C00CD 00039836
	v_cmp_lt_i32_e64 vcc, v205, 4                              // 000000010EE8: D0C1006A 000109CD
	v_min_u32_e32 v205, 4, v205                                // 000000010EF0: 1D9B9A84
	v_lshlrev_b32_e32 v205, 3, v205                            // 000000010EF4: 259B9A83
	v_lshrrev_b32_e64 v206, v205, -1                           // 000000010EF8: D11000CE 000183CD
	v_accvgpr_read_b32 v207, a102                              // 000000010F00: D3D840CF 18000166
	v_cndmask_b32_e32 v207, 0, v207, vcc                       // 000000010F08: 019F9E80
	v_and_b32_e32 v207, v207, v206                             // 000000010F0C: 279F9DCF
	v_accvgpr_write_b32 a102, v207                             // 000000010F10: D3D94066 180001CF
	v_accvgpr_read_b32 v207, a118                              // 000000010F18: D3D840CF 18000176
	v_cndmask_b32_e32 v207, 0, v207, vcc                       // 000000010F20: 019F9E80
	v_and_b32_e32 v207, v207, v206                             // 000000010F24: 279F9DCF
	v_accvgpr_write_b32 a118, v207                             // 000000010F28: D3D94076 180001CF
	s_mov_b32 s54, 0xcc                                        // 000000010F30: BEB600FF 000000CC
	v_add_i32 v205, s54, v204                                  // 000000010F38: D29C00CD 00039836
	v_cmp_lt_i32_e64 vcc, v205, 4                              // 000000010F40: D0C1006A 000109CD
	v_min_u32_e32 v205, 4, v205                                // 000000010F48: 1D9B9A84
	v_lshlrev_b32_e32 v205, 3, v205                            // 000000010F4C: 259B9A83
	v_lshrrev_b32_e64 v206, v205, -1                           // 000000010F50: D11000CE 000183CD
	v_accvgpr_read_b32 v207, a103                              // 000000010F58: D3D840CF 18000167
	v_cndmask_b32_e32 v207, 0, v207, vcc                       // 000000010F60: 019F9E80
	v_and_b32_e32 v207, v207, v206                             // 000000010F64: 279F9DCF
	v_accvgpr_write_b32 a103, v207                             // 000000010F68: D3D94067 180001CF
	v_accvgpr_read_b32 v207, a119                              // 000000010F70: D3D840CF 18000177
	v_cndmask_b32_e32 v207, 0, v207, vcc                       // 000000010F78: 019F9E80
	v_and_b32_e32 v207, v207, v206                             // 000000010F7C: 279F9DCF
	v_accvgpr_write_b32 a119, v207                             // 000000010F80: D3D94077 180001CF
	s_waitcnt lgkmcnt(11)                                      // 000000010F88: BF8CCB7F
	v_mfma_f32_16x16x32_fp8_fp8 v[100:103], a[88:89], v[4:5], 0// 000000010F8C: D3F30064 0A020958
	v_mfma_f32_16x16x32_fp8_fp8 v[104:107], a[104:105], v[4:5], 0// 000000010F94: D3F30068 0A020968
	v_mfma_f32_16x16x32_fp8_fp8 v[100:103], a[90:91], v[6:7], v[100:103]// 000000010F9C: D3F30064 0D920D5A
	buffer_load_dwordx4 a[120:123], v231, s[16:19], 0 offen    // 000000010FA4: E05C1000 808478E7
	v_mfma_f32_16x16x32_fp8_fp8 v[104:107], a[106:107], v[6:7], v[104:107]// 000000010FAC: D3F30068 0DA20D6A
	s_waitcnt lgkmcnt(10)                                      // 000000010FB4: BF8CCA7F
	v_mfma_f32_16x16x32_fp8_fp8 v[100:103], a[92:93], v[8:9], v[100:103]// 000000010FB8: D3F30064 0D92115C
	v_mfma_f32_16x16x32_fp8_fp8 v[104:107], a[108:109], v[8:9], v[104:107]// 000000010FC0: D3F30068 0DA2116C
	v_mfma_f32_16x16x32_fp8_fp8 v[100:103], a[94:95], v[10:11], v[100:103]// 000000010FC8: D3F30064 0D92155E
	buffer_load_dwordx4 a[124:127], v232, s[16:19], 0 offen    // 000000010FD0: E05C1000 80847CE8
	v_mfma_f32_16x16x32_fp8_fp8 v[104:107], a[110:111], v[10:11], v[104:107]// 000000010FD8: D3F30068 0DA2156E
	s_waitcnt lgkmcnt(9)                                       // 000000010FE0: BF8CC97F
	v_mfma_f32_16x16x32_fp8_fp8 v[100:103], a[96:97], v[12:13], v[100:103]// 000000010FE4: D3F30064 0D921960
	v_mfma_f32_16x16x32_fp8_fp8 v[104:107], a[112:113], v[12:13], v[104:107]// 000000010FEC: D3F30068 0DA21970
	v_mfma_f32_16x16x32_fp8_fp8 v[100:103], a[98:99], v[14:15], v[100:103]// 000000010FF4: D3F30064 0D921D62
	buffer_load_dwordx4 a[128:131], v233, s[16:19], 0 offen    // 000000010FFC: E05C1000 808480E9
	v_mfma_f32_16x16x32_fp8_fp8 v[104:107], a[114:115], v[14:15], v[104:107]// 000000011004: D3F30068 0DA21D72
	s_waitcnt lgkmcnt(8)                                       // 00000001100C: BF8CC87F
	v_mfma_f32_16x16x32_fp8_fp8 v[100:103], a[100:101], v[16:17], v[100:103]// 000000011010: D3F30064 0D922164
	v_mfma_f32_16x16x32_fp8_fp8 v[104:107], a[116:117], v[16:17], v[104:107]// 000000011018: D3F30068 0DA22174
	v_mfma_f32_16x16x32_fp8_fp8 v[100:103], a[102:103], v[18:19], v[100:103]// 000000011020: D3F30064 0D922566
	buffer_load_dwordx4 a[132:135], v234, s[16:19], 0 offen    // 000000011028: E05C1000 808484EA
	v_mfma_f32_16x16x32_fp8_fp8 v[104:107], a[118:119], v[18:19], v[104:107]// 000000011030: D3F30068 0DA22576
	s_waitcnt lgkmcnt(7)                                       // 000000011038: BF8CC77F
	v_mfma_f32_16x16x32_fp8_fp8 v[108:111], a[88:89], v[20:21], 0// 00000001103C: D3F3006C 0A022958
	v_mfma_f32_16x16x32_fp8_fp8 v[112:115], a[104:105], v[20:21], 0// 000000011044: D3F30070 0A022968
	v_mfma_f32_16x16x32_fp8_fp8 v[108:111], a[90:91], v[22:23], v[108:111]// 00000001104C: D3F3006C 0DB22D5A
	buffer_load_dwordx4 a[136:139], v231, s[16:19], 0 offen offset:1024// 000000011054: E05C1400 808488E7
	v_mfma_f32_16x16x32_fp8_fp8 v[112:115], a[106:107], v[22:23], v[112:115]// 00000001105C: D3F30070 0DC22D6A
	s_waitcnt lgkmcnt(6)                                       // 000000011064: BF8CC67F
	v_mfma_f32_16x16x32_fp8_fp8 v[108:111], a[92:93], v[24:25], v[108:111]// 000000011068: D3F3006C 0DB2315C
	v_mfma_f32_16x16x32_fp8_fp8 v[112:115], a[108:109], v[24:25], v[112:115]// 000000011070: D3F30070 0DC2316C
	v_mfma_f32_16x16x32_fp8_fp8 v[108:111], a[94:95], v[26:27], v[108:111]// 000000011078: D3F3006C 0DB2355E
	buffer_load_dwordx4 a[140:143], v232, s[16:19], 0 offen offset:1024// 000000011080: E05C1400 80848CE8
	v_mfma_f32_16x16x32_fp8_fp8 v[112:115], a[110:111], v[26:27], v[112:115]// 000000011088: D3F30070 0DC2356E
	s_waitcnt lgkmcnt(5)                                       // 000000011090: BF8CC57F
	v_mfma_f32_16x16x32_fp8_fp8 v[108:111], a[96:97], v[28:29], v[108:111]// 000000011094: D3F3006C 0DB23960
	v_mfma_f32_16x16x32_fp8_fp8 v[112:115], a[112:113], v[28:29], v[112:115]// 00000001109C: D3F30070 0DC23970
	v_mfma_f32_16x16x32_fp8_fp8 v[108:111], a[98:99], v[30:31], v[108:111]// 0000000110A4: D3F3006C 0DB23D62
	buffer_load_dwordx4 a[144:147], v233, s[16:19], 0 offen offset:1024// 0000000110AC: E05C1400 808490E9
	v_mfma_f32_16x16x32_fp8_fp8 v[112:115], a[114:115], v[30:31], v[112:115]// 0000000110B4: D3F30070 0DC23D72
	s_waitcnt lgkmcnt(4)                                       // 0000000110BC: BF8CC47F
	v_mfma_f32_16x16x32_fp8_fp8 v[108:111], a[100:101], v[32:33], v[108:111]// 0000000110C0: D3F3006C 0DB24164
	v_mfma_f32_16x16x32_fp8_fp8 v[112:115], a[116:117], v[32:33], v[112:115]// 0000000110C8: D3F30070 0DC24174
	v_mfma_f32_16x16x32_fp8_fp8 v[108:111], a[102:103], v[34:35], v[108:111]// 0000000110D0: D3F3006C 0DB24566
	buffer_load_dwordx4 a[148:151], v234, s[16:19], 0 offen offset:1024// 0000000110D8: E05C1400 808494EA
	v_mfma_f32_16x16x32_fp8_fp8 v[112:115], a[118:119], v[34:35], v[112:115]// 0000000110E0: D3F30070 0DC24576
	s_waitcnt lgkmcnt(3)                                       // 0000000110E8: BF8CC37F
	v_mfma_f32_16x16x32_fp8_fp8 v[116:119], a[88:89], v[36:37], 0// 0000000110EC: D3F30074 0A024958
	v_mfma_f32_16x16x32_fp8_fp8 v[120:123], a[104:105], v[36:37], 0// 0000000110F4: D3F30078 0A024968
	v_mfma_f32_16x16x32_fp8_fp8 v[116:119], a[90:91], v[38:39], v[116:119]// 0000000110FC: D3F30074 0DD24D5A
	v_mfma_f32_16x16x32_fp8_fp8 v[120:123], a[106:107], v[38:39], v[120:123]// 000000011104: D3F30078 0DE24D6A
	s_waitcnt lgkmcnt(2)                                       // 00000001110C: BF8CC27F
	v_mfma_f32_16x16x32_fp8_fp8 v[116:119], a[92:93], v[40:41], v[116:119]// 000000011110: D3F30074 0DD2515C
	v_mfma_f32_16x16x32_fp8_fp8 v[120:123], a[108:109], v[40:41], v[120:123]// 000000011118: D3F30078 0DE2516C
	v_mfma_f32_16x16x32_fp8_fp8 v[116:119], a[94:95], v[42:43], v[116:119]// 000000011120: D3F30074 0DD2555E
	v_mfma_f32_16x16x32_fp8_fp8 v[120:123], a[110:111], v[42:43], v[120:123]// 000000011128: D3F30078 0DE2556E
	s_waitcnt lgkmcnt(1)                                       // 000000011130: BF8CC17F
	v_mfma_f32_16x16x32_fp8_fp8 v[116:119], a[96:97], v[44:45], v[116:119]// 000000011134: D3F30074 0DD25960
	v_mfma_f32_16x16x32_fp8_fp8 v[120:123], a[112:113], v[44:45], v[120:123]// 00000001113C: D3F30078 0DE25970
	v_mfma_f32_16x16x32_fp8_fp8 v[116:119], a[98:99], v[46:47], v[116:119]// 000000011144: D3F30074 0DD25D62
	v_mfma_f32_16x16x32_fp8_fp8 v[120:123], a[114:115], v[46:47], v[120:123]// 00000001114C: D3F30078 0DE25D72
	s_waitcnt lgkmcnt(0)                                       // 000000011154: BF8CC07F
	v_mfma_f32_16x16x32_fp8_fp8 v[116:119], a[100:101], v[48:49], v[116:119]// 000000011158: D3F30074 0DD26164
	v_mfma_f32_16x16x32_fp8_fp8 v[120:123], a[116:117], v[48:49], v[120:123]// 000000011160: D3F30078 0DE26174
	v_mfma_f32_16x16x32_fp8_fp8 v[116:119], a[102:103], v[50:51], v[116:119]// 000000011168: D3F30074 0DD26566
	v_mfma_f32_16x16x32_fp8_fp8 v[120:123], a[118:119], v[50:51], v[120:123]// 000000011170: D3F30078 0DE26576
	s_addk_i32 s64, 0x100                                      // 000000011178: B7400100

000000000001117c <label_3ADF>:
	s_cmp_lt_i32 s64, s62                                      // 00000001117C: BF043E40
	s_cbranch_scc0 label_421E                                  // 000000011180: BF84073D
	s_waitcnt vmcnt(10)                                        // 000000011184: BF8C0F7A
	v_mfma_f32_16x16x32_fp8_fp8 v[4:7], a[56:57], a[0:1], 0    // 000000011188: D3F30004 1A020138
	s_add_u32 s12, s86, s69                                    // 000000011190: 800C4556
	s_addc_u32 s13, s87, 0                                     // 000000011194: 820D8057
	v_mfma_f32_16x16x32_fp8_fp8 v[4:7], a[58:59], a[2:3], v[4:7]// 000000011198: D3F30004 1C12053A
	s_add_u32 s16, s88, s70                                    // 0000000111A0: 80104658
	s_addc_u32 s17, s89, 0                                     // 0000000111A4: 82118059
	v_mfma_f32_16x16x32_fp8_fp8 v[4:7], a[60:61], a[4:5], v[4:7]// 0000000111A8: D3F30004 1C12093C
	buffer_load_dwordx4 a[24:27], v229, s[12:15], 0 offen      // 0000000111B0: E05C1000 808318E5
	v_mfma_f32_16x16x32_fp8_fp8 v[4:7], a[62:63], a[6:7], v[4:7]// 0000000111B8: D3F30004 1C120D3E
	s_add_u32 s20, s90, s71                                    // 0000000111C0: 8014475A
	s_addc_u32 s21, s91, 0                                     // 0000000111C4: 8215805B
	v_mfma_f32_16x16x32_fp8_fp8 v[8:11], a[64:65], a[0:1], 0   // 0000000111C8: D3F30008 1A020140
	s_add_u32 s24, s92, s71                                    // 0000000111D0: 8018475C
	s_addc_u32 s25, s93, 0                                     // 0000000111D4: 8219805D
	v_mfma_f32_16x16x32_fp8_fp8 v[8:11], a[66:67], a[2:3], v[8:11]// 0000000111D8: D3F30008 1C220542
	s_add_u32 s69, s69, 0x1000                                 // 0000000111E0: 8045FF45 00001000
	s_add_u32 s70, s70, 0x8000                                 // 0000000111E8: 8046FF46 00008000
	v_mfma_f32_16x16x32_fp8_fp8 v[8:11], a[68:69], a[4:5], v[8:11]// 0000000111F0: D3F30008 1C220944
	buffer_load_dwordx4 a[28:31], v230, s[12:15], 0 offen      // 0000000111F8: E05C1000 80831CE6
	v_mfma_f32_16x16x32_fp8_fp8 v[8:11], a[70:71], a[6:7], v[8:11]// 000000011200: D3F30008 1C220D46
	v_mfma_f32_16x16x32_fp8_fp8 v[12:15], a[72:73], a[0:1], 0  // 000000011208: D3F3000C 1A020148
	v_mfma_f32_16x16x32_fp8_fp8 v[12:15], a[74:75], a[2:3], v[12:15]// 000000011210: D3F3000C 1C32054A
	v_mfma_f32_16x16x32_fp8_fp8 v[12:15], a[76:77], a[4:5], v[12:15]// 000000011218: D3F3000C 1C32094C
	buffer_load_dwordx4 a[32:35], v229, s[12:15], 0 offen offset:1024// 000000011220: E05C1400 808320E5
	v_mfma_f32_16x16x32_fp8_fp8 v[12:15], a[78:79], a[6:7], v[12:15]// 000000011228: D3F3000C 1C320D4E
	v_mfma_f32_16x16x32_fp8_fp8 v[16:19], a[80:81], a[0:1], 0  // 000000011230: D3F30010 1A020150
	v_mfma_f32_16x16x32_fp8_fp8 v[16:19], a[82:83], a[2:3], v[16:19]// 000000011238: D3F30010 1C420552
	v_mfma_f32_16x16x32_fp8_fp8 v[16:19], a[84:85], a[4:5], v[16:19]// 000000011240: D3F30010 1C420954
	buffer_load_dwordx4 a[36:39], v230, s[12:15], 0 offen offset:1024// 000000011248: E05C1400 808324E6
	v_mfma_f32_16x16x32_fp8_fp8 v[16:19], a[86:87], a[6:7], v[16:19]// 000000011250: D3F30010 1C420D56
	v_mfma_f32_16x16x32_fp8_fp8 v[20:23], a[56:57], a[8:9], 0  // 000000011258: D3F30014 1A021138
	v_mfma_f32_16x16x32_fp8_fp8 v[20:23], a[58:59], a[10:11], v[20:23]// 000000011260: D3F30014 1C52153A
	v_mfma_f32_16x16x32_fp8_fp8 v[20:23], a[60:61], a[12:13], v[20:23]// 000000011268: D3F30014 1C52193C
	buffer_load_dwordx4 a[40:43], v229, s[12:15], 0 offen offset:2048// 000000011270: E05C1800 808328E5
	v_mfma_f32_16x16x32_fp8_fp8 v[20:23], a[62:63], a[14:15], v[20:23]// 000000011278: D3F30014 1C521D3E
	v_mfma_f32_16x16x32_fp8_fp8 v[24:27], a[64:65], a[8:9], 0  // 000000011280: D3F30018 1A021140
	v_mfma_f32_16x16x32_fp8_fp8 v[24:27], a[66:67], a[10:11], v[24:27]// 000000011288: D3F30018 1C621542
	v_mfma_f32_16x16x32_fp8_fp8 v[24:27], a[68:69], a[12:13], v[24:27]// 000000011290: D3F30018 1C621944
	buffer_load_dwordx4 a[44:47], v230, s[12:15], 0 offen offset:2048// 000000011298: E05C1800 80832CE6
	v_mfma_f32_16x16x32_fp8_fp8 v[24:27], a[70:71], a[14:15], v[24:27]// 0000000112A0: D3F30018 1C621D46
	v_mfma_f32_16x16x32_fp8_fp8 v[28:31], a[72:73], a[8:9], 0  // 0000000112A8: D3F3001C 1A021148
	v_mfma_f32_16x16x32_fp8_fp8 v[28:31], a[74:75], a[10:11], v[28:31]// 0000000112B0: D3F3001C 1C72154A
	v_mfma_f32_16x16x32_fp8_fp8 v[28:31], a[76:77], a[12:13], v[28:31]// 0000000112B8: D3F3001C 1C72194C
	buffer_load_dwordx4 a[48:51], v229, s[12:15], 0 offen offset:3072// 0000000112C0: E05C1C00 808330E5
	v_mfma_f32_16x16x32_fp8_fp8 v[28:31], a[78:79], a[14:15], v[28:31]// 0000000112C8: D3F3001C 1C721D4E
	v_mfma_f32_16x16x32_fp8_fp8 v[32:35], a[80:81], a[8:9], 0  // 0000000112D0: D3F30020 1A021150
	v_mfma_f32_16x16x32_fp8_fp8 v[32:35], a[82:83], a[10:11], v[32:35]// 0000000112D8: D3F30020 1C821552
	v_mfma_f32_16x16x32_fp8_fp8 v[32:35], a[84:85], a[12:13], v[32:35]// 0000000112E0: D3F30020 1C821954
	buffer_load_dwordx4 a[52:55], v230, s[12:15], 0 offen offset:3072// 0000000112E8: E05C1C00 808334E6
	v_mfma_f32_16x16x32_fp8_fp8 v[32:35], a[86:87], a[14:15], v[32:35]// 0000000112F0: D3F30020 1C821D56
	v_mfma_f32_16x16x32_fp8_fp8 v[36:39], a[56:57], a[16:17], 0// 0000000112F8: D3F30024 1A022138
	v_mfma_f32_16x16x32_fp8_fp8 v[36:39], a[58:59], a[18:19], v[36:39]// 000000011300: D3F30024 1C92253A
	v_mfma_f32_16x16x32_fp8_fp8 v[36:39], a[60:61], a[20:21], v[36:39]// 000000011308: D3F30024 1C92293C
	v_mfma_f32_16x16x32_fp8_fp8 v[36:39], a[62:63], a[22:23], v[36:39]// 000000011310: D3F30024 1C922D3E
	v_mfma_f32_16x16x32_fp8_fp8 v[40:43], a[64:65], a[16:17], 0// 000000011318: D3F30028 1A022140
	v_mfma_f32_16x16x32_fp8_fp8 v[40:43], a[66:67], a[18:19], v[40:43]// 000000011320: D3F30028 1CA22542
	v_mfma_f32_16x16x32_fp8_fp8 v[40:43], a[68:69], a[20:21], v[40:43]// 000000011328: D3F30028 1CA22944
	v_mfma_f32_16x16x32_fp8_fp8 v[40:43], a[70:71], a[22:23], v[40:43]// 000000011330: D3F30028 1CA22D46
	v_mfma_f32_16x16x32_fp8_fp8 v[44:47], a[72:73], a[16:17], 0// 000000011338: D3F3002C 1A022148
	v_mfma_f32_16x16x32_fp8_fp8 v[44:47], a[74:75], a[18:19], v[44:47]// 000000011340: D3F3002C 1CB2254A
	v_mfma_f32_16x16x32_fp8_fp8 v[44:47], a[76:77], a[20:21], v[44:47]// 000000011348: D3F3002C 1CB2294C
	v_mfma_f32_16x16x32_fp8_fp8 v[44:47], a[78:79], a[22:23], v[44:47]// 000000011350: D3F3002C 1CB22D4E
	v_mfma_f32_16x16x32_fp8_fp8 v[48:51], a[80:81], a[16:17], 0// 000000011358: D3F30030 1A022150
	v_mfma_f32_16x16x32_fp8_fp8 v[48:51], a[82:83], a[18:19], v[48:51]// 000000011360: D3F30030 1CC22552
	v_mfma_f32_16x16x32_fp8_fp8 v[48:51], a[84:85], a[20:21], v[48:51]// 000000011368: D3F30030 1CC22954
	v_mfma_f32_16x16x32_fp8_fp8 v[48:51], a[86:87], a[22:23], v[48:51]// 000000011370: D3F30030 1CC22D56
	s_waitcnt vmcnt(16)                                        // 000000011378: BF8C4F70
	v_pk_mul_f32 v[4:5], v[148:149], v[4:5]                    // 00000001137C: D3B14004 18020994
	v_pk_mul_f32 v[6:7], v[148:149], v[6:7]                    // 000000011384: D3B14006 18020D94
	v_mul_f32_dpp v4, v155, v4 row_newbcast:0 row_mask:0xf bank_mask:0xf// 00000001138C: 0A0808FA FF01509B
	v_mul_f32_dpp v5, v155, v5 row_newbcast:1 row_mask:0xf bank_mask:0xf// 000000011394: 0A0A0AFA FF01519B
	v_mul_f32_dpp v6, v155, v6 row_newbcast:2 row_mask:0xf bank_mask:0xf// 00000001139C: 0A0C0CFA FF01529B
	v_mul_f32_dpp v7, v155, v7 row_newbcast:3 row_mask:0xf bank_mask:0xf// 0000000113A4: 0A0E0EFA FF01539B
	v_pk_mul_f32 v[8:9], v[148:149], v[8:9]                    // 0000000113AC: D3B14008 18021194
	v_pk_mul_f32 v[10:11], v[148:149], v[10:11]                // 0000000113B4: D3B1400A 18021594
	v_mul_f32_dpp v8, v155, v8 row_newbcast:4 row_mask:0xf bank_mask:0xf// 0000000113BC: 0A1010FA FF01549B
	v_mul_f32_dpp v9, v155, v9 row_newbcast:5 row_mask:0xf bank_mask:0xf// 0000000113C4: 0A1212FA FF01559B
	v_mul_f32_dpp v10, v155, v10 row_newbcast:6 row_mask:0xf bank_mask:0xf// 0000000113CC: 0A1414FA FF01569B
	v_mul_f32_dpp v11, v155, v11 row_newbcast:7 row_mask:0xf bank_mask:0xf// 0000000113D4: 0A1616FA FF01579B
	v_pk_mul_f32 v[12:13], v[148:149], v[12:13]                // 0000000113DC: D3B1400C 18021994
	v_pk_mul_f32 v[14:15], v[148:149], v[14:15]                // 0000000113E4: D3B1400E 18021D94
	v_mul_f32_dpp v12, v155, v12 row_newbcast:8 row_mask:0xf bank_mask:0xf// 0000000113EC: 0A1818FA FF01589B
	v_mul_f32_dpp v13, v155, v13 row_newbcast:9 row_mask:0xf bank_mask:0xf// 0000000113F4: 0A1A1AFA FF01599B
	v_mul_f32_dpp v14, v155, v14 row_newbcast:10 row_mask:0xf bank_mask:0xf// 0000000113FC: 0A1C1CFA FF015A9B
	v_mul_f32_dpp v15, v155, v15 row_newbcast:11 row_mask:0xf bank_mask:0xf// 000000011404: 0A1E1EFA FF015B9B
	v_pk_mul_f32 v[16:17], v[148:149], v[16:17]                // 00000001140C: D3B14010 18022194
	v_pk_mul_f32 v[18:19], v[148:149], v[18:19]                // 000000011414: D3B14012 18022594
	v_mul_f32_dpp v16, v155, v16 row_newbcast:12 row_mask:0xf bank_mask:0xf// 00000001141C: 0A2020FA FF015C9B
	v_mul_f32_dpp v17, v155, v17 row_newbcast:13 row_mask:0xf bank_mask:0xf// 000000011424: 0A2222FA FF015D9B
	v_mul_f32_dpp v18, v155, v18 row_newbcast:14 row_mask:0xf bank_mask:0xf// 00000001142C: 0A2424FA FF015E9B
	v_mul_f32_dpp v19, v155, v19 row_newbcast:15 row_mask:0xf bank_mask:0xf// 000000011434: 0A2626FA FF015F9B
	v_pk_mul_f32 v[20:21], v[150:151], v[20:21]                // 00000001143C: D3B14014 18022996
	v_pk_mul_f32 v[22:23], v[150:151], v[22:23]                // 000000011444: D3B14016 18022D96
	v_mul_f32_dpp v20, v155, v20 row_newbcast:0 row_mask:0xf bank_mask:0xf// 00000001144C: 0A2828FA FF01509B
	v_mul_f32_dpp v21, v155, v21 row_newbcast:1 row_mask:0xf bank_mask:0xf// 000000011454: 0A2A2AFA FF01519B
	v_mul_f32_dpp v22, v155, v22 row_newbcast:2 row_mask:0xf bank_mask:0xf// 00000001145C: 0A2C2CFA FF01529B
	v_mul_f32_dpp v23, v155, v23 row_newbcast:3 row_mask:0xf bank_mask:0xf// 000000011464: 0A2E2EFA FF01539B
	v_pk_mul_f32 v[24:25], v[150:151], v[24:25]                // 00000001146C: D3B14018 18023196
	v_pk_mul_f32 v[26:27], v[150:151], v[26:27]                // 000000011474: D3B1401A 18023596
	v_mul_f32_dpp v24, v155, v24 row_newbcast:4 row_mask:0xf bank_mask:0xf// 00000001147C: 0A3030FA FF01549B
	v_mul_f32_dpp v25, v155, v25 row_newbcast:5 row_mask:0xf bank_mask:0xf// 000000011484: 0A3232FA FF01559B
	v_mul_f32_dpp v26, v155, v26 row_newbcast:6 row_mask:0xf bank_mask:0xf// 00000001148C: 0A3434FA FF01569B
	v_mul_f32_dpp v27, v155, v27 row_newbcast:7 row_mask:0xf bank_mask:0xf// 000000011494: 0A3636FA FF01579B
	v_pk_mul_f32 v[28:29], v[150:151], v[28:29]                // 00000001149C: D3B1401C 18023996
	v_pk_mul_f32 v[30:31], v[150:151], v[30:31]                // 0000000114A4: D3B1401E 18023D96
	v_mul_f32_dpp v28, v155, v28 row_newbcast:8 row_mask:0xf bank_mask:0xf// 0000000114AC: 0A3838FA FF01589B
	v_mul_f32_dpp v29, v155, v29 row_newbcast:9 row_mask:0xf bank_mask:0xf// 0000000114B4: 0A3A3AFA FF01599B
	v_mul_f32_dpp v30, v155, v30 row_newbcast:10 row_mask:0xf bank_mask:0xf// 0000000114BC: 0A3C3CFA FF015A9B
	v_mul_f32_dpp v31, v155, v31 row_newbcast:11 row_mask:0xf bank_mask:0xf// 0000000114C4: 0A3E3EFA FF015B9B
	v_pk_mul_f32 v[32:33], v[150:151], v[32:33]                // 0000000114CC: D3B14020 18024196
	v_pk_mul_f32 v[34:35], v[150:151], v[34:35]                // 0000000114D4: D3B14022 18024596
	v_mul_f32_dpp v32, v155, v32 row_newbcast:12 row_mask:0xf bank_mask:0xf// 0000000114DC: 0A4040FA FF015C9B
	v_mul_f32_dpp v33, v155, v33 row_newbcast:13 row_mask:0xf bank_mask:0xf// 0000000114E4: 0A4242FA FF015D9B
	v_mul_f32_dpp v34, v155, v34 row_newbcast:14 row_mask:0xf bank_mask:0xf// 0000000114EC: 0A4444FA FF015E9B
	v_mul_f32_dpp v35, v155, v35 row_newbcast:15 row_mask:0xf bank_mask:0xf// 0000000114F4: 0A4646FA FF015F9B
	v_pk_mul_f32 v[36:37], v[152:153], v[36:37]                // 0000000114FC: D3B14024 18024998
	v_pk_mul_f32 v[38:39], v[152:153], v[38:39]                // 000000011504: D3B14026 18024D98
	v_mul_f32_dpp v36, v155, v36 row_newbcast:0 row_mask:0xf bank_mask:0xf// 00000001150C: 0A4848FA FF01509B
	v_mul_f32_dpp v37, v155, v37 row_newbcast:1 row_mask:0xf bank_mask:0xf// 000000011514: 0A4A4AFA FF01519B
	v_mul_f32_dpp v38, v155, v38 row_newbcast:2 row_mask:0xf bank_mask:0xf// 00000001151C: 0A4C4CFA FF01529B
	v_mul_f32_dpp v39, v155, v39 row_newbcast:3 row_mask:0xf bank_mask:0xf// 000000011524: 0A4E4EFA FF01539B
	v_pk_mul_f32 v[40:41], v[152:153], v[40:41]                // 00000001152C: D3B14028 18025198
	v_pk_mul_f32 v[42:43], v[152:153], v[42:43]                // 000000011534: D3B1402A 18025598
	v_mul_f32_dpp v40, v155, v40 row_newbcast:4 row_mask:0xf bank_mask:0xf// 00000001153C: 0A5050FA FF01549B
	v_mul_f32_dpp v41, v155, v41 row_newbcast:5 row_mask:0xf bank_mask:0xf// 000000011544: 0A5252FA FF01559B
	v_mul_f32_dpp v42, v155, v42 row_newbcast:6 row_mask:0xf bank_mask:0xf// 00000001154C: 0A5454FA FF01569B
	v_mul_f32_dpp v43, v155, v43 row_newbcast:7 row_mask:0xf bank_mask:0xf// 000000011554: 0A5656FA FF01579B
	v_pk_mul_f32 v[44:45], v[152:153], v[44:45]                // 00000001155C: D3B1402C 18025998
	v_pk_mul_f32 v[46:47], v[152:153], v[46:47]                // 000000011564: D3B1402E 18025D98
	v_mul_f32_dpp v44, v155, v44 row_newbcast:8 row_mask:0xf bank_mask:0xf// 00000001156C: 0A5858FA FF01589B
	v_mul_f32_dpp v45, v155, v45 row_newbcast:9 row_mask:0xf bank_mask:0xf// 000000011574: 0A5A5AFA FF01599B
	v_mul_f32_dpp v46, v155, v46 row_newbcast:10 row_mask:0xf bank_mask:0xf// 00000001157C: 0A5C5CFA FF015A9B
	v_mul_f32_dpp v47, v155, v47 row_newbcast:11 row_mask:0xf bank_mask:0xf// 000000011584: 0A5E5EFA FF015B9B
	v_pk_mul_f32 v[48:49], v[152:153], v[48:49]                // 00000001158C: D3B14030 18026198
	v_pk_mul_f32 v[50:51], v[152:153], v[50:51]                // 000000011594: D3B14032 18026598
	v_mul_f32_dpp v48, v155, v48 row_newbcast:12 row_mask:0xf bank_mask:0xf// 00000001159C: 0A6060FA FF015C9B
	v_mul_f32_dpp v49, v155, v49 row_newbcast:13 row_mask:0xf bank_mask:0xf// 0000000115A4: 0A6262FA FF015D9B
	v_mul_f32_dpp v50, v155, v50 row_newbcast:14 row_mask:0xf bank_mask:0xf// 0000000115AC: 0A6464FA FF015E9B
	v_mul_f32_dpp v51, v155, v51 row_newbcast:15 row_mask:0xf bank_mask:0xf// 0000000115B4: 0A6666FA FF015F9B
	v_add_u32_e32 v204, s64, v221                              // 0000000115BC: 6999BA40
	v_add_u32_e32 v205, 0, v204                                // 0000000115C0: 699B9880
	v_cmp_lt_u32_e64 s[98:99], v205, v218                      // 0000000115C4: D0C90062 0003B5CD
	s_nop 0                                                    // 0000000115CC: BF800000
	v_cndmask_b32_e64 v4, v222, v4, s[98:99]                   // 0000000115D0: D1000004 018A09DE
	v_add_u32_e32 v205, 1, v204                                // 0000000115D8: 699B9881
	v_cmp_lt_u32_e64 s[98:99], v205, v218                      // 0000000115DC: D0C90062 0003B5CD
	s_nop 0                                                    // 0000000115E4: BF800000
	v_cndmask_b32_e64 v5, v222, v5, s[98:99]                   // 0000000115E8: D1000005 018A0BDE
	v_add_u32_e32 v205, 2, v204                                // 0000000115F0: 699B9882
	v_cmp_lt_u32_e64 s[98:99], v205, v218                      // 0000000115F4: D0C90062 0003B5CD
	s_nop 0                                                    // 0000000115FC: BF800000
	v_cndmask_b32_e64 v6, v222, v6, s[98:99]                   // 000000011600: D1000006 018A0DDE
	v_add_u32_e32 v205, 3, v204                                // 000000011608: 699B9883
	v_cmp_lt_u32_e64 s[98:99], v205, v218                      // 00000001160C: D0C90062 0003B5CD
	s_nop 0                                                    // 000000011614: BF800000
	v_cndmask_b32_e64 v7, v222, v7, s[98:99]                   // 000000011618: D1000007 018A0FDE
	v_add_u32_e32 v205, 64, v204                               // 000000011620: 699B98C0
	v_cmp_lt_u32_e64 s[98:99], v205, v218                      // 000000011624: D0C90062 0003B5CD
	s_nop 0                                                    // 00000001162C: BF800000
	v_cndmask_b32_e64 v8, v222, v8, s[98:99]                   // 000000011630: D1000008 018A11DE
	v_add_u32_e32 v205, 0x41, v204                             // 000000011638: 699B98FF 00000041
	v_cmp_lt_u32_e64 s[98:99], v205, v218                      // 000000011640: D0C90062 0003B5CD
	s_nop 0                                                    // 000000011648: BF800000
	v_cndmask_b32_e64 v9, v222, v9, s[98:99]                   // 00000001164C: D1000009 018A13DE
	v_add_u32_e32 v205, 0x42, v204                             // 000000011654: 699B98FF 00000042
	v_cmp_lt_u32_e64 s[98:99], v205, v218                      // 00000001165C: D0C90062 0003B5CD
	s_nop 0                                                    // 000000011664: BF800000
	v_cndmask_b32_e64 v10, v222, v10, s[98:99]                 // 000000011668: D100000A 018A15DE
	v_add_u32_e32 v205, 0x43, v204                             // 000000011670: 699B98FF 00000043
	v_cmp_lt_u32_e64 s[98:99], v205, v218                      // 000000011678: D0C90062 0003B5CD
	s_nop 0                                                    // 000000011680: BF800000
	v_cndmask_b32_e64 v11, v222, v11, s[98:99]                 // 000000011684: D100000B 018A17DE
	v_add_u32_e32 v205, 0x80, v204                             // 00000001168C: 699B98FF 00000080
	v_cmp_lt_u32_e64 s[98:99], v205, v218                      // 000000011694: D0C90062 0003B5CD
	s_nop 0                                                    // 00000001169C: BF800000
	v_cndmask_b32_e64 v12, v222, v12, s[98:99]                 // 0000000116A0: D100000C 018A19DE
	v_add_u32_e32 v205, 0x81, v204                             // 0000000116A8: 699B98FF 00000081
	v_cmp_lt_u32_e64 s[98:99], v205, v218                      // 0000000116B0: D0C90062 0003B5CD
	s_nop 0                                                    // 0000000116B8: BF800000
	v_cndmask_b32_e64 v13, v222, v13, s[98:99]                 // 0000000116BC: D100000D 018A1BDE
	v_add_u32_e32 v205, 0x82, v204                             // 0000000116C4: 699B98FF 00000082
	v_cmp_lt_u32_e64 s[98:99], v205, v218                      // 0000000116CC: D0C90062 0003B5CD
	s_nop 0                                                    // 0000000116D4: BF800000
	v_cndmask_b32_e64 v14, v222, v14, s[98:99]                 // 0000000116D8: D100000E 018A1DDE
	v_add_u32_e32 v205, 0x83, v204                             // 0000000116E0: 699B98FF 00000083
	v_cmp_lt_u32_e64 s[98:99], v205, v218                      // 0000000116E8: D0C90062 0003B5CD
	s_nop 0                                                    // 0000000116F0: BF800000
	v_cndmask_b32_e64 v15, v222, v15, s[98:99]                 // 0000000116F4: D100000F 018A1FDE
	v_add_u32_e32 v205, 0xc0, v204                             // 0000000116FC: 699B98FF 000000C0
	v_cmp_lt_u32_e64 s[98:99], v205, v218                      // 000000011704: D0C90062 0003B5CD
	s_nop 0                                                    // 00000001170C: BF800000
	v_cndmask_b32_e64 v16, v222, v16, s[98:99]                 // 000000011710: D1000010 018A21DE
	v_add_u32_e32 v205, 0xc1, v204                             // 000000011718: 699B98FF 000000C1
	v_cmp_lt_u32_e64 s[98:99], v205, v218                      // 000000011720: D0C90062 0003B5CD
	s_nop 0                                                    // 000000011728: BF800000
	v_cndmask_b32_e64 v17, v222, v17, s[98:99]                 // 00000001172C: D1000011 018A23DE
	v_add_u32_e32 v205, 0xc2, v204                             // 000000011734: 699B98FF 000000C2
	v_cmp_lt_u32_e64 s[98:99], v205, v218                      // 00000001173C: D0C90062 0003B5CD
	s_nop 0                                                    // 000000011744: BF800000
	v_cndmask_b32_e64 v18, v222, v18, s[98:99]                 // 000000011748: D1000012 018A25DE
	v_add_u32_e32 v205, 0xc3, v204                             // 000000011750: 699B98FF 000000C3
	v_cmp_lt_u32_e64 s[98:99], v205, v218                      // 000000011758: D0C90062 0003B5CD
	s_nop 0                                                    // 000000011760: BF800000
	v_cndmask_b32_e64 v19, v222, v19, s[98:99]                 // 000000011764: D1000013 018A27DE
	v_add_u32_e32 v205, 0, v204                                // 00000001176C: 699B9880
	v_cmp_lt_u32_e64 s[98:99], v205, v219                      // 000000011770: D0C90062 0003B7CD
	s_nop 0                                                    // 000000011778: BF800000
	v_cndmask_b32_e64 v20, v222, v20, s[98:99]                 // 00000001177C: D1000014 018A29DE
	v_add_u32_e32 v205, 1, v204                                // 000000011784: 699B9881
	v_cmp_lt_u32_e64 s[98:99], v205, v219                      // 000000011788: D0C90062 0003B7CD
	s_nop 0                                                    // 000000011790: BF800000
	v_cndmask_b32_e64 v21, v222, v21, s[98:99]                 // 000000011794: D1000015 018A2BDE
	v_add_u32_e32 v205, 2, v204                                // 00000001179C: 699B9882
	v_cmp_lt_u32_e64 s[98:99], v205, v219                      // 0000000117A0: D0C90062 0003B7CD
	s_nop 0                                                    // 0000000117A8: BF800000
	v_cndmask_b32_e64 v22, v222, v22, s[98:99]                 // 0000000117AC: D1000016 018A2DDE
	v_add_u32_e32 v205, 3, v204                                // 0000000117B4: 699B9883
	v_cmp_lt_u32_e64 s[98:99], v205, v219                      // 0000000117B8: D0C90062 0003B7CD
	s_nop 0                                                    // 0000000117C0: BF800000
	v_cndmask_b32_e64 v23, v222, v23, s[98:99]                 // 0000000117C4: D1000017 018A2FDE
	v_add_u32_e32 v205, 64, v204                               // 0000000117CC: 699B98C0
	v_cmp_lt_u32_e64 s[98:99], v205, v219                      // 0000000117D0: D0C90062 0003B7CD
	s_nop 0                                                    // 0000000117D8: BF800000
	v_cndmask_b32_e64 v24, v222, v24, s[98:99]                 // 0000000117DC: D1000018 018A31DE
	v_add_u32_e32 v205, 0x41, v204                             // 0000000117E4: 699B98FF 00000041
	v_cmp_lt_u32_e64 s[98:99], v205, v219                      // 0000000117EC: D0C90062 0003B7CD
	s_nop 0                                                    // 0000000117F4: BF800000
	v_cndmask_b32_e64 v25, v222, v25, s[98:99]                 // 0000000117F8: D1000019 018A33DE
	v_add_u32_e32 v205, 0x42, v204                             // 000000011800: 699B98FF 00000042
	v_cmp_lt_u32_e64 s[98:99], v205, v219                      // 000000011808: D0C90062 0003B7CD
	s_nop 0                                                    // 000000011810: BF800000
	v_cndmask_b32_e64 v26, v222, v26, s[98:99]                 // 000000011814: D100001A 018A35DE
	v_add_u32_e32 v205, 0x43, v204                             // 00000001181C: 699B98FF 00000043
	v_cmp_lt_u32_e64 s[98:99], v205, v219                      // 000000011824: D0C90062 0003B7CD
	s_nop 0                                                    // 00000001182C: BF800000
	v_cndmask_b32_e64 v27, v222, v27, s[98:99]                 // 000000011830: D100001B 018A37DE
	v_add_u32_e32 v205, 0x80, v204                             // 000000011838: 699B98FF 00000080
	v_cmp_lt_u32_e64 s[98:99], v205, v219                      // 000000011840: D0C90062 0003B7CD
	s_nop 0                                                    // 000000011848: BF800000
	v_cndmask_b32_e64 v28, v222, v28, s[98:99]                 // 00000001184C: D100001C 018A39DE
	v_add_u32_e32 v205, 0x81, v204                             // 000000011854: 699B98FF 00000081
	v_cmp_lt_u32_e64 s[98:99], v205, v219                      // 00000001185C: D0C90062 0003B7CD
	s_nop 0                                                    // 000000011864: BF800000
	v_cndmask_b32_e64 v29, v222, v29, s[98:99]                 // 000000011868: D100001D 018A3BDE
	v_add_u32_e32 v205, 0x82, v204                             // 000000011870: 699B98FF 00000082
	v_cmp_lt_u32_e64 s[98:99], v205, v219                      // 000000011878: D0C90062 0003B7CD
	s_nop 0                                                    // 000000011880: BF800000
	v_cndmask_b32_e64 v30, v222, v30, s[98:99]                 // 000000011884: D100001E 018A3DDE
	v_add_u32_e32 v205, 0x83, v204                             // 00000001188C: 699B98FF 00000083
	v_cmp_lt_u32_e64 s[98:99], v205, v219                      // 000000011894: D0C90062 0003B7CD
	s_nop 0                                                    // 00000001189C: BF800000
	v_cndmask_b32_e64 v31, v222, v31, s[98:99]                 // 0000000118A0: D100001F 018A3FDE
	v_add_u32_e32 v205, 0xc0, v204                             // 0000000118A8: 699B98FF 000000C0
	v_cmp_lt_u32_e64 s[98:99], v205, v219                      // 0000000118B0: D0C90062 0003B7CD
	s_nop 0                                                    // 0000000118B8: BF800000
	v_cndmask_b32_e64 v32, v222, v32, s[98:99]                 // 0000000118BC: D1000020 018A41DE
	v_add_u32_e32 v205, 0xc1, v204                             // 0000000118C4: 699B98FF 000000C1
	v_cmp_lt_u32_e64 s[98:99], v205, v219                      // 0000000118CC: D0C90062 0003B7CD
	s_nop 0                                                    // 0000000118D4: BF800000
	v_cndmask_b32_e64 v33, v222, v33, s[98:99]                 // 0000000118D8: D1000021 018A43DE
	v_add_u32_e32 v205, 0xc2, v204                             // 0000000118E0: 699B98FF 000000C2
	v_cmp_lt_u32_e64 s[98:99], v205, v219                      // 0000000118E8: D0C90062 0003B7CD
	s_nop 0                                                    // 0000000118F0: BF800000
	v_cndmask_b32_e64 v34, v222, v34, s[98:99]                 // 0000000118F4: D1000022 018A45DE
	v_add_u32_e32 v205, 0xc3, v204                             // 0000000118FC: 699B98FF 000000C3
	v_cmp_lt_u32_e64 s[98:99], v205, v219                      // 000000011904: D0C90062 0003B7CD
	s_nop 0                                                    // 00000001190C: BF800000
	v_cndmask_b32_e64 v35, v222, v35, s[98:99]                 // 000000011910: D1000023 018A47DE
	v_add_u32_e32 v205, 0, v204                                // 000000011918: 699B9880
	v_cmp_lt_u32_e64 s[98:99], v205, v220                      // 00000001191C: D0C90062 0003B9CD
	s_nop 0                                                    // 000000011924: BF800000
	v_cndmask_b32_e64 v36, v222, v36, s[98:99]                 // 000000011928: D1000024 018A49DE
	v_add_u32_e32 v205, 1, v204                                // 000000011930: 699B9881
	v_cmp_lt_u32_e64 s[98:99], v205, v220                      // 000000011934: D0C90062 0003B9CD
	s_nop 0                                                    // 00000001193C: BF800000
	v_cndmask_b32_e64 v37, v222, v37, s[98:99]                 // 000000011940: D1000025 018A4BDE
	v_add_u32_e32 v205, 2, v204                                // 000000011948: 699B9882
	v_cmp_lt_u32_e64 s[98:99], v205, v220                      // 00000001194C: D0C90062 0003B9CD
	s_nop 0                                                    // 000000011954: BF800000
	v_cndmask_b32_e64 v38, v222, v38, s[98:99]                 // 000000011958: D1000026 018A4DDE
	v_add_u32_e32 v205, 3, v204                                // 000000011960: 699B9883
	v_cmp_lt_u32_e64 s[98:99], v205, v220                      // 000000011964: D0C90062 0003B9CD
	s_nop 0                                                    // 00000001196C: BF800000
	v_cndmask_b32_e64 v39, v222, v39, s[98:99]                 // 000000011970: D1000027 018A4FDE
	v_add_u32_e32 v205, 64, v204                               // 000000011978: 699B98C0
	v_cmp_lt_u32_e64 s[98:99], v205, v220                      // 00000001197C: D0C90062 0003B9CD
	s_nop 0                                                    // 000000011984: BF800000
	v_cndmask_b32_e64 v40, v222, v40, s[98:99]                 // 000000011988: D1000028 018A51DE
	v_add_u32_e32 v205, 0x41, v204                             // 000000011990: 699B98FF 00000041
	v_cmp_lt_u32_e64 s[98:99], v205, v220                      // 000000011998: D0C90062 0003B9CD
	s_nop 0                                                    // 0000000119A0: BF800000
	v_cndmask_b32_e64 v41, v222, v41, s[98:99]                 // 0000000119A4: D1000029 018A53DE
	v_add_u32_e32 v205, 0x42, v204                             // 0000000119AC: 699B98FF 00000042
	v_cmp_lt_u32_e64 s[98:99], v205, v220                      // 0000000119B4: D0C90062 0003B9CD
	s_nop 0                                                    // 0000000119BC: BF800000
	v_cndmask_b32_e64 v42, v222, v42, s[98:99]                 // 0000000119C0: D100002A 018A55DE
	v_add_u32_e32 v205, 0x43, v204                             // 0000000119C8: 699B98FF 00000043
	v_cmp_lt_u32_e64 s[98:99], v205, v220                      // 0000000119D0: D0C90062 0003B9CD
	s_nop 0                                                    // 0000000119D8: BF800000
	v_cndmask_b32_e64 v43, v222, v43, s[98:99]                 // 0000000119DC: D100002B 018A57DE
	v_add_u32_e32 v205, 0x80, v204                             // 0000000119E4: 699B98FF 00000080
	v_cmp_lt_u32_e64 s[98:99], v205, v220                      // 0000000119EC: D0C90062 0003B9CD
	s_nop 0                                                    // 0000000119F4: BF800000
	v_cndmask_b32_e64 v44, v222, v44, s[98:99]                 // 0000000119F8: D100002C 018A59DE
	v_add_u32_e32 v205, 0x81, v204                             // 000000011A00: 699B98FF 00000081
	v_cmp_lt_u32_e64 s[98:99], v205, v220                      // 000000011A08: D0C90062 0003B9CD
	s_nop 0                                                    // 000000011A10: BF800000
	v_cndmask_b32_e64 v45, v222, v45, s[98:99]                 // 000000011A14: D100002D 018A5BDE
	v_add_u32_e32 v205, 0x82, v204                             // 000000011A1C: 699B98FF 00000082
	v_cmp_lt_u32_e64 s[98:99], v205, v220                      // 000000011A24: D0C90062 0003B9CD
	s_nop 0                                                    // 000000011A2C: BF800000
	v_cndmask_b32_e64 v46, v222, v46, s[98:99]                 // 000000011A30: D100002E 018A5DDE
	v_add_u32_e32 v205, 0x83, v204                             // 000000011A38: 699B98FF 00000083
	v_cmp_lt_u32_e64 s[98:99], v205, v220                      // 000000011A40: D0C90062 0003B9CD
	s_nop 0                                                    // 000000011A48: BF800000
	v_cndmask_b32_e64 v47, v222, v47, s[98:99]                 // 000000011A4C: D100002F 018A5FDE
	v_add_u32_e32 v205, 0xc0, v204                             // 000000011A54: 699B98FF 000000C0
	v_cmp_lt_u32_e64 s[98:99], v205, v220                      // 000000011A5C: D0C90062 0003B9CD
	s_nop 0                                                    // 000000011A64: BF800000
	v_cndmask_b32_e64 v48, v222, v48, s[98:99]                 // 000000011A68: D1000030 018A61DE
	v_add_u32_e32 v205, 0xc1, v204                             // 000000011A70: 699B98FF 000000C1
	v_cmp_lt_u32_e64 s[98:99], v205, v220                      // 000000011A78: D0C90062 0003B9CD
	s_nop 0                                                    // 000000011A80: BF800000
	v_cndmask_b32_e64 v49, v222, v49, s[98:99]                 // 000000011A84: D1000031 018A63DE
	v_add_u32_e32 v205, 0xc2, v204                             // 000000011A8C: 699B98FF 000000C2
	v_cmp_lt_u32_e64 s[98:99], v205, v220                      // 000000011A94: D0C90062 0003B9CD
	s_nop 0                                                    // 000000011A9C: BF800000
	v_cndmask_b32_e64 v50, v222, v50, s[98:99]                 // 000000011AA0: D1000032 018A65DE
	v_add_u32_e32 v205, 0xc3, v204                             // 000000011AA8: 699B98FF 000000C3
	v_cmp_lt_u32_e64 s[98:99], v205, v220                      // 000000011AB0: D0C90062 0003B9CD
	s_nop 0                                                    // 000000011AB8: BF800000
	v_cndmask_b32_e64 v51, v222, v51, s[98:99]                 // 000000011ABC: D1000033 018A67DE
	v_mov_b32_e32 v182, v4                                     // 000000011AC4: 7F6C0304
	v_max3_f32 v182, v4, v5, v182                              // 000000011AC8: D1D300B6 06DA0B04
	v_max3_f32 v182, v6, v7, v182                              // 000000011AD0: D1D300B6 06DA0F06
	v_max3_f32 v182, v8, v9, v182                              // 000000011AD8: D1D300B6 06DA1308
	v_max3_f32 v182, v10, v11, v182                            // 000000011AE0: D1D300B6 06DA170A
	v_max3_f32 v182, v12, v13, v182                            // 000000011AE8: D1D300B6 06DA1B0C
	v_max3_f32 v182, v14, v15, v182                            // 000000011AF0: D1D300B6 06DA1F0E
	v_max3_f32 v182, v16, v17, v182                            // 000000011AF8: D1D300B6 06DA2310
	v_max3_f32 v182, v18, v19, v182                            // 000000011B00: D1D300B6 06DA2712
	v_mov_b32_e32 v183, v20                                    // 000000011B08: 7F6E0314
	v_max3_f32 v183, v20, v21, v183                            // 000000011B0C: D1D300B7 06DE2B14
	v_max3_f32 v183, v22, v23, v183                            // 000000011B14: D1D300B7 06DE2F16
	v_max3_f32 v183, v24, v25, v183                            // 000000011B1C: D1D300B7 06DE3318
	v_max3_f32 v183, v26, v27, v183                            // 000000011B24: D1D300B7 06DE371A
	v_max3_f32 v183, v28, v29, v183                            // 000000011B2C: D1D300B7 06DE3B1C
	v_max3_f32 v183, v30, v31, v183                            // 000000011B34: D1D300B7 06DE3F1E
	v_max3_f32 v183, v32, v33, v183                            // 000000011B3C: D1D300B7 06DE4320
	v_max3_f32 v183, v34, v35, v183                            // 000000011B44: D1D300B7 06DE4722
	v_mov_b32_e32 v184, v36                                    // 000000011B4C: 7F700324
	v_max3_f32 v184, v36, v37, v184                            // 000000011B50: D1D300B8 06E24B24
	v_max3_f32 v184, v38, v39, v184                            // 000000011B58: D1D300B8 06E24F26
	v_max3_f32 v184, v40, v41, v184                            // 000000011B60: D1D300B8 06E25328
	v_max3_f32 v184, v42, v43, v184                            // 000000011B68: D1D300B8 06E2572A
	v_max3_f32 v184, v44, v45, v184                            // 000000011B70: D1D300B8 06E25B2C
	v_max3_f32 v184, v46, v47, v184                            // 000000011B78: D1D300B8 06E25F2E
	v_max3_f32 v184, v48, v49, v184                            // 000000011B80: D1D300B8 06E26330
	v_max3_f32 v184, v50, v51, v184                            // 000000011B88: D1D300B8 06E26732
	ds_bpermute_b32 v188, v208, v182                           // 000000011B90: D87E0000 BC00B6D0
	ds_bpermute_b32 v189, v209, v182                           // 000000011B98: D87E0000 BD00B6D1
	ds_bpermute_b32 v190, v210, v182                           // 000000011BA0: D87E0000 BE00B6D2
	ds_bpermute_b32 v191, v208, v183                           // 000000011BA8: D87E0000 BF00B7D0
	ds_bpermute_b32 v192, v209, v183                           // 000000011BB0: D87E0000 C000B7D1
	ds_bpermute_b32 v193, v210, v183                           // 000000011BB8: D87E0000 C100B7D2
	ds_bpermute_b32 v194, v208, v184                           // 000000011BC0: D87E0000 C200B8D0
	ds_bpermute_b32 v195, v209, v184                           // 000000011BC8: D87E0000 C300B8D1
	ds_bpermute_b32 v196, v210, v184                           // 000000011BD0: D87E0000 C400B8D2
	v_pk_mul_f32 v[124:125], v[170:171], v[124:125]            // 000000011BD8: D3B1407C 1802F9AA
	v_pk_mul_f32 v[126:127], v[170:171], v[126:127]            // 000000011BE0: D3B1407E 1802FDAA
	v_pk_mul_f32 v[128:129], v[170:171], v[128:129]            // 000000011BE8: D3B14080 180301AA
	v_pk_mul_f32 v[130:131], v[170:171], v[130:131]            // 000000011BF0: D3B14082 180305AA
	v_pk_mul_f32 v[132:133], v[172:173], v[132:133]            // 000000011BF8: D3B14084 180309AC
	v_pk_mul_f32 v[134:135], v[172:173], v[134:135]            // 000000011C00: D3B14086 18030DAC
	v_pk_mul_f32 v[136:137], v[172:173], v[136:137]            // 000000011C08: D3B14088 180311AC
	v_pk_mul_f32 v[138:139], v[172:173], v[138:139]            // 000000011C10: D3B1408A 180315AC
	v_pk_mul_f32 v[140:141], v[174:175], v[140:141]            // 000000011C18: D3B1408C 180319AE
	v_pk_mul_f32 v[142:143], v[174:175], v[142:143]            // 000000011C20: D3B1408E 18031DAE
	v_pk_mul_f32 v[144:145], v[174:175], v[144:145]            // 000000011C28: D3B14090 180321AE
	v_pk_mul_f32 v[146:147], v[174:175], v[146:147]            // 000000011C30: D3B14092 180325AE
	s_waitcnt lgkmcnt(6)                                       // 000000011C38: BF8CC67F
	v_max3_f32 v182, v188, v189, v182                          // 000000011C3C: D1D300B6 06DB7BBC
	v_max_f32_e32 v182, v190, v182                             // 000000011C44: 176D6DBE
	s_waitcnt lgkmcnt(3)                                       // 000000011C48: BF8CC37F
	v_max3_f32 v183, v191, v192, v183                          // 000000011C4C: D1D300B7 06DF81BF
	v_max_f32_e32 v183, v193, v183                             // 000000011C54: 176F6FC1
	s_waitcnt lgkmcnt(0)                                       // 000000011C58: BF8CC07F
	v_max3_f32 v184, v194, v195, v184                          // 000000011C5C: D1D300B8 06E387C2
	v_max_f32_e32 v184, v196, v184                             // 000000011C64: 177171C4
	ds_write_b128 v249, v[182:185]                             // 000000011C68: D9BE0000 0000B6F9
	s_waitcnt lgkmcnt(0)                                       // 000000011C70: BF8CC07F
	s_barrier                                                  // 000000011C74: BF8A0000
	ds_read_b128 v[188:191], v250                              // 000000011C78: D9FE0000 BC0000FA
	ds_read_b128 v[192:195], v250 offset:256                   // 000000011C80: D9FE0100 C00000FA
	ds_read_b128 v[196:199], v250 offset:512                   // 000000011C88: D9FE0200 C40000FA
	ds_read_b128 v[200:203], v250 offset:768                   // 000000011C90: D9FE0300 C80000FA
	v_pk_mul_f32 v[100:101], v[158:159], v[100:101]            // 000000011C98: D3B14064 1802C99E
	v_pk_mul_f32 v[102:103], v[158:159], v[102:103]            // 000000011CA0: D3B14066 1802CD9E
	v_pk_mul_f32 v[104:105], v[158:159], v[104:105]            // 000000011CA8: D3B14068 1802D19E
	v_pk_mul_f32 v[106:107], v[158:159], v[106:107]            // 000000011CB0: D3B1406A 1802D59E
	v_pk_mul_f32 v[108:109], v[160:161], v[108:109]            // 000000011CB8: D3B1406C 1802D9A0
	v_pk_mul_f32 v[110:111], v[160:161], v[110:111]            // 000000011CC0: D3B1406E 1802DDA0
	v_pk_mul_f32 v[112:113], v[160:161], v[112:113]            // 000000011CC8: D3B14070 1802E1A0
	v_pk_mul_f32 v[114:115], v[160:161], v[114:115]            // 000000011CD0: D3B14072 1802E5A0
	v_pk_mul_f32 v[116:117], v[162:163], v[116:117]            // 000000011CD8: D3B14074 1802E9A2
	v_pk_mul_f32 v[118:119], v[162:163], v[118:119]            // 000000011CE0: D3B14076 1802EDA2
	v_pk_mul_f32 v[120:121], v[162:163], v[120:121]            // 000000011CE8: D3B14078 1802F1A2
	v_pk_mul_f32 v[122:123], v[162:163], v[122:123]            // 000000011CF0: D3B1407A 1802F5A2
	s_waitcnt lgkmcnt(0)                                       // 000000011CF8: BF8CC07F
	v_max3_f32 v182, v188, v192, v182                          // 000000011CFC: D1D300B6 06DB81BC
	v_max3_f32 v183, v189, v193, v183                          // 000000011D04: D1D300B7 06DF83BD
	v_max3_f32 v184, v190, v194, v184                          // 000000011D0C: D1D300B8 06E385BE
	v_max3_f32 v182, v196, v200, v182                          // 000000011D14: D1D300B6 06DB91C4
	v_max3_f32 v183, v197, v201, v183                          // 000000011D1C: D1D300B7 06DF93C5
	v_max3_f32 v184, v198, v202, v184                          // 000000011D24: D1D300B8 06E395C6
	v_max_f32_e32 v167, v182, v164                             // 000000011D2C: 174F49B6
	v_mul_f32_e64 v204, -s46, v167                             // 000000011D30: D10500CC 20034E2E
	v_mov_b32_e32 v205, v204                                   // 000000011D38: 7F9A03CC
	v_pk_fma_f32 v[4:5], v[4:5], s[46:47], v[204:205]          // 000000011D3C: D3B04004 1F305D04
	v_pk_fma_f32 v[6:7], v[6:7], s[46:47], v[204:205]          // 000000011D44: D3B04006 1F305D06
	v_exp_f32_e32 v4, v4                                       // 000000011D4C: 7E084104
	v_exp_f32_e32 v5, v5                                       // 000000011D50: 7E0A4105
	v_exp_f32_e32 v6, v6                                       // 000000011D54: 7E0C4106
	v_exp_f32_e32 v7, v7                                       // 000000011D58: 7E0E4107
	v_pk_fma_f32 v[8:9], v[8:9], s[46:47], v[204:205]          // 000000011D5C: D3B04008 1F305D08
	v_pk_fma_f32 v[10:11], v[10:11], s[46:47], v[204:205]      // 000000011D64: D3B0400A 1F305D0A
	v_exp_f32_e32 v8, v8                                       // 000000011D6C: 7E104108
	v_exp_f32_e32 v9, v9                                       // 000000011D70: 7E124109
	v_exp_f32_e32 v10, v10                                     // 000000011D74: 7E14410A
	v_exp_f32_e32 v11, v11                                     // 000000011D78: 7E16410B
	v_pk_fma_f32 v[12:13], v[12:13], s[46:47], v[204:205]      // 000000011D7C: D3B0400C 1F305D0C
	v_pk_fma_f32 v[14:15], v[14:15], s[46:47], v[204:205]      // 000000011D84: D3B0400E 1F305D0E
	v_exp_f32_e32 v12, v12                                     // 000000011D8C: 7E18410C
	v_exp_f32_e32 v13, v13                                     // 000000011D90: 7E1A410D
	v_exp_f32_e32 v14, v14                                     // 000000011D94: 7E1C410E
	v_exp_f32_e32 v15, v15                                     // 000000011D98: 7E1E410F
	v_pk_fma_f32 v[16:17], v[16:17], s[46:47], v[204:205]      // 000000011D9C: D3B04010 1F305D10
	v_pk_fma_f32 v[18:19], v[18:19], s[46:47], v[204:205]      // 000000011DA4: D3B04012 1F305D12
	v_exp_f32_e32 v16, v16                                     // 000000011DAC: 7E204110
	v_exp_f32_e32 v17, v17                                     // 000000011DB0: 7E224111
	v_exp_f32_e32 v18, v18                                     // 000000011DB4: 7E244112
	v_exp_f32_e32 v19, v19                                     // 000000011DB8: 7E264113
	v_max_f32_e32 v168, v183, v165                             // 000000011DBC: 17514BB7
	v_mul_f32_e64 v204, -s46, v168                             // 000000011DC0: D10500CC 2003502E
	v_mov_b32_e32 v205, v204                                   // 000000011DC8: 7F9A03CC
	v_pk_fma_f32 v[20:21], v[20:21], s[46:47], v[204:205]      // 000000011DCC: D3B04014 1F305D14
	v_pk_fma_f32 v[22:23], v[22:23], s[46:47], v[204:205]      // 000000011DD4: D3B04016 1F305D16
	v_exp_f32_e32 v20, v20                                     // 000000011DDC: 7E284114
	v_exp_f32_e32 v21, v21                                     // 000000011DE0: 7E2A4115
	v_exp_f32_e32 v22, v22                                     // 000000011DE4: 7E2C4116
	v_exp_f32_e32 v23, v23                                     // 000000011DE8: 7E2E4117
	v_pk_fma_f32 v[24:25], v[24:25], s[46:47], v[204:205]      // 000000011DEC: D3B04018 1F305D18
	v_pk_fma_f32 v[26:27], v[26:27], s[46:47], v[204:205]      // 000000011DF4: D3B0401A 1F305D1A
	v_exp_f32_e32 v24, v24                                     // 000000011DFC: 7E304118
	v_exp_f32_e32 v25, v25                                     // 000000011E00: 7E324119
	v_exp_f32_e32 v26, v26                                     // 000000011E04: 7E34411A
	v_exp_f32_e32 v27, v27                                     // 000000011E08: 7E36411B
	v_pk_fma_f32 v[28:29], v[28:29], s[46:47], v[204:205]      // 000000011E0C: D3B0401C 1F305D1C
	v_pk_fma_f32 v[30:31], v[30:31], s[46:47], v[204:205]      // 000000011E14: D3B0401E 1F305D1E
	v_exp_f32_e32 v28, v28                                     // 000000011E1C: 7E38411C
	v_exp_f32_e32 v29, v29                                     // 000000011E20: 7E3A411D
	v_exp_f32_e32 v30, v30                                     // 000000011E24: 7E3C411E
	v_exp_f32_e32 v31, v31                                     // 000000011E28: 7E3E411F
	v_pk_fma_f32 v[32:33], v[32:33], s[46:47], v[204:205]      // 000000011E2C: D3B04020 1F305D20
	v_pk_fma_f32 v[34:35], v[34:35], s[46:47], v[204:205]      // 000000011E34: D3B04022 1F305D22
	v_exp_f32_e32 v32, v32                                     // 000000011E3C: 7E404120
	v_exp_f32_e32 v33, v33                                     // 000000011E40: 7E424121
	v_exp_f32_e32 v34, v34                                     // 000000011E44: 7E444122
	v_exp_f32_e32 v35, v35                                     // 000000011E48: 7E464123
	v_max_f32_e32 v169, v184, v166                             // 000000011E4C: 17534DB8
	v_mul_f32_e64 v204, -s46, v169                             // 000000011E50: D10500CC 2003522E
	v_mov_b32_e32 v205, v204                                   // 000000011E58: 7F9A03CC
	v_pk_fma_f32 v[36:37], v[36:37], s[46:47], v[204:205]      // 000000011E5C: D3B04024 1F305D24
	v_pk_fma_f32 v[38:39], v[38:39], s[46:47], v[204:205]      // 000000011E64: D3B04026 1F305D26
	v_exp_f32_e32 v36, v36                                     // 000000011E6C: 7E484124
	v_exp_f32_e32 v37, v37                                     // 000000011E70: 7E4A4125
	v_exp_f32_e32 v38, v38                                     // 000000011E74: 7E4C4126
	v_exp_f32_e32 v39, v39                                     // 000000011E78: 7E4E4127
	v_pk_fma_f32 v[40:41], v[40:41], s[46:47], v[204:205]      // 000000011E7C: D3B04028 1F305D28
	v_pk_fma_f32 v[42:43], v[42:43], s[46:47], v[204:205]      // 000000011E84: D3B0402A 1F305D2A
	v_exp_f32_e32 v40, v40                                     // 000000011E8C: 7E504128
	v_exp_f32_e32 v41, v41                                     // 000000011E90: 7E524129
	v_exp_f32_e32 v42, v42                                     // 000000011E94: 7E54412A
	v_exp_f32_e32 v43, v43                                     // 000000011E98: 7E56412B
	v_pk_fma_f32 v[44:45], v[44:45], s[46:47], v[204:205]      // 000000011E9C: D3B0402C 1F305D2C
	v_pk_fma_f32 v[46:47], v[46:47], s[46:47], v[204:205]      // 000000011EA4: D3B0402E 1F305D2E
	v_exp_f32_e32 v44, v44                                     // 000000011EAC: 7E58412C
	v_exp_f32_e32 v45, v45                                     // 000000011EB0: 7E5A412D
	v_exp_f32_e32 v46, v46                                     // 000000011EB4: 7E5C412E
	v_exp_f32_e32 v47, v47                                     // 000000011EB8: 7E5E412F
	v_pk_fma_f32 v[48:49], v[48:49], s[46:47], v[204:205]      // 000000011EBC: D3B04030 1F305D30
	v_pk_fma_f32 v[50:51], v[50:51], s[46:47], v[204:205]      // 000000011EC4: D3B04032 1F305D32
	v_exp_f32_e32 v48, v48                                     // 000000011ECC: 7E604130
	v_exp_f32_e32 v49, v49                                     // 000000011ED0: 7E624131
	v_exp_f32_e32 v50, v50                                     // 000000011ED4: 7E644132
	v_exp_f32_e32 v51, v51                                     // 000000011ED8: 7E664133
	v_mul_f32_dpp v52, v157, v4 row_newbcast:0 row_mask:0xf bank_mask:0xf// 000000011EDC: 0A6808FA FF01509D
	v_mul_f32_dpp v53, v157, v5 row_newbcast:1 row_mask:0xf bank_mask:0xf// 000000011EE4: 0A6A0AFA FF01519D
	v_mul_f32_dpp v54, v157, v6 row_newbcast:2 row_mask:0xf bank_mask:0xf// 000000011EEC: 0A6C0CFA FF01529D
	v_mul_f32_dpp v55, v157, v7 row_newbcast:3 row_mask:0xf bank_mask:0xf// 000000011EF4: 0A6E0EFA FF01539D
	v_mul_f32_dpp v56, v157, v8 row_newbcast:4 row_mask:0xf bank_mask:0xf// 000000011EFC: 0A7010FA FF01549D
	v_mul_f32_dpp v57, v157, v9 row_newbcast:5 row_mask:0xf bank_mask:0xf// 000000011F04: 0A7212FA FF01559D
	v_mul_f32_dpp v58, v157, v10 row_newbcast:6 row_mask:0xf bank_mask:0xf// 000000011F0C: 0A7414FA FF01569D
	v_mul_f32_dpp v59, v157, v11 row_newbcast:7 row_mask:0xf bank_mask:0xf// 000000011F14: 0A7616FA FF01579D
	v_mul_f32_dpp v60, v157, v12 row_newbcast:8 row_mask:0xf bank_mask:0xf// 000000011F1C: 0A7818FA FF01589D
	v_mul_f32_dpp v61, v157, v13 row_newbcast:9 row_mask:0xf bank_mask:0xf// 000000011F24: 0A7A1AFA FF01599D
	v_mul_f32_dpp v62, v157, v14 row_newbcast:10 row_mask:0xf bank_mask:0xf// 000000011F2C: 0A7C1CFA FF015A9D
	v_mul_f32_dpp v63, v157, v15 row_newbcast:11 row_mask:0xf bank_mask:0xf// 000000011F34: 0A7E1EFA FF015B9D
	v_mul_f32_dpp v64, v157, v16 row_newbcast:12 row_mask:0xf bank_mask:0xf// 000000011F3C: 0A8020FA FF015C9D
	v_mul_f32_dpp v65, v157, v17 row_newbcast:13 row_mask:0xf bank_mask:0xf// 000000011F44: 0A8222FA FF015D9D
	v_mul_f32_dpp v66, v157, v18 row_newbcast:14 row_mask:0xf bank_mask:0xf// 000000011F4C: 0A8424FA FF015E9D
	v_mul_f32_dpp v67, v157, v19 row_newbcast:15 row_mask:0xf bank_mask:0xf// 000000011F54: 0A8626FA FF015F9D
	v_mul_f32_dpp v68, v157, v20 row_newbcast:0 row_mask:0xf bank_mask:0xf// 000000011F5C: 0A8828FA FF01509D
	v_mul_f32_dpp v69, v157, v21 row_newbcast:1 row_mask:0xf bank_mask:0xf// 000000011F64: 0A8A2AFA FF01519D
	v_mul_f32_dpp v70, v157, v22 row_newbcast:2 row_mask:0xf bank_mask:0xf// 000000011F6C: 0A8C2CFA FF01529D
	v_mul_f32_dpp v71, v157, v23 row_newbcast:3 row_mask:0xf bank_mask:0xf// 000000011F74: 0A8E2EFA FF01539D
	v_mul_f32_dpp v72, v157, v24 row_newbcast:4 row_mask:0xf bank_mask:0xf// 000000011F7C: 0A9030FA FF01549D
	v_mul_f32_dpp v73, v157, v25 row_newbcast:5 row_mask:0xf bank_mask:0xf// 000000011F84: 0A9232FA FF01559D
	v_mul_f32_dpp v74, v157, v26 row_newbcast:6 row_mask:0xf bank_mask:0xf// 000000011F8C: 0A9434FA FF01569D
	v_mul_f32_dpp v75, v157, v27 row_newbcast:7 row_mask:0xf bank_mask:0xf// 000000011F94: 0A9636FA FF01579D
	v_mul_f32_dpp v76, v157, v28 row_newbcast:8 row_mask:0xf bank_mask:0xf// 000000011F9C: 0A9838FA FF01589D
	v_mul_f32_dpp v77, v157, v29 row_newbcast:9 row_mask:0xf bank_mask:0xf// 000000011FA4: 0A9A3AFA FF01599D
	v_mul_f32_dpp v78, v157, v30 row_newbcast:10 row_mask:0xf bank_mask:0xf// 000000011FAC: 0A9C3CFA FF015A9D
	v_mul_f32_dpp v79, v157, v31 row_newbcast:11 row_mask:0xf bank_mask:0xf// 000000011FB4: 0A9E3EFA FF015B9D
	v_mul_f32_dpp v80, v157, v32 row_newbcast:12 row_mask:0xf bank_mask:0xf// 000000011FBC: 0AA040FA FF015C9D
	v_mul_f32_dpp v81, v157, v33 row_newbcast:13 row_mask:0xf bank_mask:0xf// 000000011FC4: 0AA242FA FF015D9D
	v_mul_f32_dpp v82, v157, v34 row_newbcast:14 row_mask:0xf bank_mask:0xf// 000000011FCC: 0AA444FA FF015E9D
	v_mul_f32_dpp v83, v157, v35 row_newbcast:15 row_mask:0xf bank_mask:0xf// 000000011FD4: 0AA646FA FF015F9D
	v_mul_f32_dpp v84, v157, v36 row_newbcast:0 row_mask:0xf bank_mask:0xf// 000000011FDC: 0AA848FA FF01509D
	v_mul_f32_dpp v85, v157, v37 row_newbcast:1 row_mask:0xf bank_mask:0xf// 000000011FE4: 0AAA4AFA FF01519D
	v_mul_f32_dpp v86, v157, v38 row_newbcast:2 row_mask:0xf bank_mask:0xf// 000000011FEC: 0AAC4CFA FF01529D
	v_mul_f32_dpp v87, v157, v39 row_newbcast:3 row_mask:0xf bank_mask:0xf// 000000011FF4: 0AAE4EFA FF01539D
	v_mul_f32_dpp v88, v157, v40 row_newbcast:4 row_mask:0xf bank_mask:0xf// 000000011FFC: 0AB050FA FF01549D
	v_mul_f32_dpp v89, v157, v41 row_newbcast:5 row_mask:0xf bank_mask:0xf// 000000012004: 0AB252FA FF01559D
	v_mul_f32_dpp v90, v157, v42 row_newbcast:6 row_mask:0xf bank_mask:0xf// 00000001200C: 0AB454FA FF01569D
	v_mul_f32_dpp v91, v157, v43 row_newbcast:7 row_mask:0xf bank_mask:0xf// 000000012014: 0AB656FA FF01579D
	v_mul_f32_dpp v92, v157, v44 row_newbcast:8 row_mask:0xf bank_mask:0xf// 00000001201C: 0AB858FA FF01589D
	v_mul_f32_dpp v93, v157, v45 row_newbcast:9 row_mask:0xf bank_mask:0xf// 000000012024: 0ABA5AFA FF01599D
	v_mul_f32_dpp v94, v157, v46 row_newbcast:10 row_mask:0xf bank_mask:0xf// 00000001202C: 0ABC5CFA FF015A9D
	v_mul_f32_dpp v95, v157, v47 row_newbcast:11 row_mask:0xf bank_mask:0xf// 000000012034: 0ABE5EFA FF015B9D
	v_mul_f32_dpp v96, v157, v48 row_newbcast:12 row_mask:0xf bank_mask:0xf// 00000001203C: 0AC060FA FF015C9D
	v_mul_f32_dpp v97, v157, v49 row_newbcast:13 row_mask:0xf bank_mask:0xf// 000000012044: 0AC262FA FF015D9D
	v_mul_f32_dpp v98, v157, v50 row_newbcast:14 row_mask:0xf bank_mask:0xf// 00000001204C: 0AC464FA FF015E9D
	v_mul_f32_dpp v99, v157, v51 row_newbcast:15 row_mask:0xf bank_mask:0xf// 000000012054: 0AC666FA FF015F9D
	v_add_u32_e32 v204, s64, v221                              // 00000001205C: 6999BA40
	v_add_u32_e32 v205, 0, v204                                // 000000012060: 699B9880
	v_cmp_lt_u32_e32 vcc, v205, v218                           // 000000012064: 7D93B5CD
	v_cndmask_b32_e32 v52, 0, v52, vcc                         // 000000012068: 00686880
	v_cmp_lt_u32_e32 vcc, v205, v219                           // 00000001206C: 7D93B7CD
	v_cndmask_b32_e32 v68, 0, v68, vcc                         // 000000012070: 00888880
	v_cmp_lt_u32_e32 vcc, v205, v220                           // 000000012074: 7D93B9CD
	v_cndmask_b32_e32 v84, 0, v84, vcc                         // 000000012078: 00A8A880
	v_add_u32_e32 v205, 1, v204                                // 00000001207C: 699B9881
	v_cmp_lt_u32_e32 vcc, v205, v218                           // 000000012080: 7D93B5CD
	v_cndmask_b32_e32 v53, 0, v53, vcc                         // 000000012084: 006A6A80
	v_cmp_lt_u32_e32 vcc, v205, v219                           // 000000012088: 7D93B7CD
	v_cndmask_b32_e32 v69, 0, v69, vcc                         // 00000001208C: 008A8A80
	v_cmp_lt_u32_e32 vcc, v205, v220                           // 000000012090: 7D93B9CD
	v_cndmask_b32_e32 v85, 0, v85, vcc                         // 000000012094: 00AAAA80
	v_add_u32_e32 v205, 2, v204                                // 000000012098: 699B9882
	v_cmp_lt_u32_e32 vcc, v205, v218                           // 00000001209C: 7D93B5CD
	v_cndmask_b32_e32 v54, 0, v54, vcc                         // 0000000120A0: 006C6C80
	v_cmp_lt_u32_e32 vcc, v205, v219                           // 0000000120A4: 7D93B7CD
	v_cndmask_b32_e32 v70, 0, v70, vcc                         // 0000000120A8: 008C8C80
	v_cmp_lt_u32_e32 vcc, v205, v220                           // 0000000120AC: 7D93B9CD
	v_cndmask_b32_e32 v86, 0, v86, vcc                         // 0000000120B0: 00ACAC80
	v_add_u32_e32 v205, 3, v204                                // 0000000120B4: 699B9883
	v_cmp_lt_u32_e32 vcc, v205, v218                           // 0000000120B8: 7D93B5CD
	v_cndmask_b32_e32 v55, 0, v55, vcc                         // 0000000120BC: 006E6E80
	v_cmp_lt_u32_e32 vcc, v205, v219                           // 0000000120C0: 7D93B7CD
	v_cndmask_b32_e32 v71, 0, v71, vcc                         // 0000000120C4: 008E8E80
	v_cmp_lt_u32_e32 vcc, v205, v220                           // 0000000120C8: 7D93B9CD
	v_cndmask_b32_e32 v87, 0, v87, vcc                         // 0000000120CC: 00AEAE80
	v_add_u32_e32 v205, 64, v204                               // 0000000120D0: 699B98C0
	v_cmp_lt_u32_e32 vcc, v205, v218                           // 0000000120D4: 7D93B5CD
	v_cndmask_b32_e32 v56, 0, v56, vcc                         // 0000000120D8: 00707080
	v_cmp_lt_u32_e32 vcc, v205, v219                           // 0000000120DC: 7D93B7CD
	v_cndmask_b32_e32 v72, 0, v72, vcc                         // 0000000120E0: 00909080
	v_cmp_lt_u32_e32 vcc, v205, v220                           // 0000000120E4: 7D93B9CD
	v_cndmask_b32_e32 v88, 0, v88, vcc                         // 0000000120E8: 00B0B080
	v_add_u32_e32 v205, 0x41, v204                             // 0000000120EC: 699B98FF 00000041
	v_cmp_lt_u32_e32 vcc, v205, v218                           // 0000000120F4: 7D93B5CD
	v_cndmask_b32_e32 v57, 0, v57, vcc                         // 0000000120F8: 00727280
	v_cmp_lt_u32_e32 vcc, v205, v219                           // 0000000120FC: 7D93B7CD
	v_cndmask_b32_e32 v73, 0, v73, vcc                         // 000000012100: 00929280
	v_cmp_lt_u32_e32 vcc, v205, v220                           // 000000012104: 7D93B9CD
	v_cndmask_b32_e32 v89, 0, v89, vcc                         // 000000012108: 00B2B280
	v_add_u32_e32 v205, 0x42, v204                             // 00000001210C: 699B98FF 00000042
	v_cmp_lt_u32_e32 vcc, v205, v218                           // 000000012114: 7D93B5CD
	v_cndmask_b32_e32 v58, 0, v58, vcc                         // 000000012118: 00747480
	v_cmp_lt_u32_e32 vcc, v205, v219                           // 00000001211C: 7D93B7CD
	v_cndmask_b32_e32 v74, 0, v74, vcc                         // 000000012120: 00949480
	v_cmp_lt_u32_e32 vcc, v205, v220                           // 000000012124: 7D93B9CD
	v_cndmask_b32_e32 v90, 0, v90, vcc                         // 000000012128: 00B4B480
	v_add_u32_e32 v205, 0x43, v204                             // 00000001212C: 699B98FF 00000043
	v_cmp_lt_u32_e32 vcc, v205, v218                           // 000000012134: 7D93B5CD
	v_cndmask_b32_e32 v59, 0, v59, vcc                         // 000000012138: 00767680
	v_cmp_lt_u32_e32 vcc, v205, v219                           // 00000001213C: 7D93B7CD
	v_cndmask_b32_e32 v75, 0, v75, vcc                         // 000000012140: 00969680
	v_cmp_lt_u32_e32 vcc, v205, v220                           // 000000012144: 7D93B9CD
	v_cndmask_b32_e32 v91, 0, v91, vcc                         // 000000012148: 00B6B680
	v_add_u32_e32 v205, 0x80, v204                             // 00000001214C: 699B98FF 00000080
	v_cmp_lt_u32_e32 vcc, v205, v218                           // 000000012154: 7D93B5CD
	v_cndmask_b32_e32 v60, 0, v60, vcc                         // 000000012158: 00787880
	v_cmp_lt_u32_e32 vcc, v205, v219                           // 00000001215C: 7D93B7CD
	v_cndmask_b32_e32 v76, 0, v76, vcc                         // 000000012160: 00989880
	v_cmp_lt_u32_e32 vcc, v205, v220                           // 000000012164: 7D93B9CD
	v_cndmask_b32_e32 v92, 0, v92, vcc                         // 000000012168: 00B8B880
	v_add_u32_e32 v205, 0x81, v204                             // 00000001216C: 699B98FF 00000081
	v_cmp_lt_u32_e32 vcc, v205, v218                           // 000000012174: 7D93B5CD
	v_cndmask_b32_e32 v61, 0, v61, vcc                         // 000000012178: 007A7A80
	v_cmp_lt_u32_e32 vcc, v205, v219                           // 00000001217C: 7D93B7CD
	v_cndmask_b32_e32 v77, 0, v77, vcc                         // 000000012180: 009A9A80
	v_cmp_lt_u32_e32 vcc, v205, v220                           // 000000012184: 7D93B9CD
	v_cndmask_b32_e32 v93, 0, v93, vcc                         // 000000012188: 00BABA80
	v_add_u32_e32 v205, 0x82, v204                             // 00000001218C: 699B98FF 00000082
	v_cmp_lt_u32_e32 vcc, v205, v218                           // 000000012194: 7D93B5CD
	v_cndmask_b32_e32 v62, 0, v62, vcc                         // 000000012198: 007C7C80
	v_cmp_lt_u32_e32 vcc, v205, v219                           // 00000001219C: 7D93B7CD
	v_cndmask_b32_e32 v78, 0, v78, vcc                         // 0000000121A0: 009C9C80
	v_cmp_lt_u32_e32 vcc, v205, v220                           // 0000000121A4: 7D93B9CD
	v_cndmask_b32_e32 v94, 0, v94, vcc                         // 0000000121A8: 00BCBC80
	v_add_u32_e32 v205, 0x83, v204                             // 0000000121AC: 699B98FF 00000083
	v_cmp_lt_u32_e32 vcc, v205, v218                           // 0000000121B4: 7D93B5CD
	v_cndmask_b32_e32 v63, 0, v63, vcc                         // 0000000121B8: 007E7E80
	v_cmp_lt_u32_e32 vcc, v205, v219                           // 0000000121BC: 7D93B7CD
	v_cndmask_b32_e32 v79, 0, v79, vcc                         // 0000000121C0: 009E9E80
	v_cmp_lt_u32_e32 vcc, v205, v220                           // 0000000121C4: 7D93B9CD
	v_cndmask_b32_e32 v95, 0, v95, vcc                         // 0000000121C8: 00BEBE80
	v_add_u32_e32 v205, 0xc0, v204                             // 0000000121CC: 699B98FF 000000C0
	v_cmp_lt_u32_e32 vcc, v205, v218                           // 0000000121D4: 7D93B5CD
	v_cndmask_b32_e32 v64, 0, v64, vcc                         // 0000000121D8: 00808080
	v_cmp_lt_u32_e32 vcc, v205, v219                           // 0000000121DC: 7D93B7CD
	v_cndmask_b32_e32 v80, 0, v80, vcc                         // 0000000121E0: 00A0A080
	v_cmp_lt_u32_e32 vcc, v205, v220                           // 0000000121E4: 7D93B9CD
	v_cndmask_b32_e32 v96, 0, v96, vcc                         // 0000000121E8: 00C0C080
	v_add_u32_e32 v205, 0xc1, v204                             // 0000000121EC: 699B98FF 000000C1
	v_cmp_lt_u32_e32 vcc, v205, v218                           // 0000000121F4: 7D93B5CD
	v_cndmask_b32_e32 v65, 0, v65, vcc                         // 0000000121F8: 00828280
	v_cmp_lt_u32_e32 vcc, v205, v219                           // 0000000121FC: 7D93B7CD
	v_cndmask_b32_e32 v81, 0, v81, vcc                         // 000000012200: 00A2A280
	v_cmp_lt_u32_e32 vcc, v205, v220                           // 000000012204: 7D93B9CD
	v_cndmask_b32_e32 v97, 0, v97, vcc                         // 000000012208: 00C2C280
	v_add_u32_e32 v205, 0xc2, v204                             // 00000001220C: 699B98FF 000000C2
	v_cmp_lt_u32_e32 vcc, v205, v218                           // 000000012214: 7D93B5CD
	v_cndmask_b32_e32 v66, 0, v66, vcc                         // 000000012218: 00848480
	v_cmp_lt_u32_e32 vcc, v205, v219                           // 00000001221C: 7D93B7CD
	v_cndmask_b32_e32 v82, 0, v82, vcc                         // 000000012220: 00A4A480
	v_cmp_lt_u32_e32 vcc, v205, v220                           // 000000012224: 7D93B9CD
	v_cndmask_b32_e32 v98, 0, v98, vcc                         // 000000012228: 00C4C480
	v_add_u32_e32 v205, 0xc3, v204                             // 00000001222C: 699B98FF 000000C3
	v_cmp_lt_u32_e32 vcc, v205, v218                           // 000000012234: 7D93B5CD
	v_cndmask_b32_e32 v67, 0, v67, vcc                         // 000000012238: 00868680
	v_cmp_lt_u32_e32 vcc, v205, v219                           // 00000001223C: 7D93B7CD
	v_cndmask_b32_e32 v83, 0, v83, vcc                         // 000000012240: 00A6A680
	v_cmp_lt_u32_e32 vcc, v205, v220                           // 000000012244: 7D93B9CD
	v_cndmask_b32_e32 v99, 0, v99, vcc                         // 000000012248: 00C6C680
	buffer_load_dword v154, v235, s[20:23], 0 offen            // 00000001224C: E0501000 80059AEB
	v_sub_f32_e32 v170, v164, v167                             // 000000012254: 05554FA4
	v_cmp_eq_u32_e64 s[98:99], v222, v164                      // 000000012258: D0CA0062 000349DE
	v_cndmask_b32_e64 v170, v170, 0, s[98:99]                  // 000000012260: D10000AA 018901AA
	v_mov_b32_e32 v164, v167                                   // 000000012268: 7F4803A7
	v_mul_f32_e32 v170, s46, v170                              // 00000001226C: 0B55542E
	v_exp_f32_e32 v170, v170                                   // 000000012270: 7F5441AA
	v_sub_f32_e32 v172, v165, v168                             // 000000012274: 055951A5
	v_cmp_eq_u32_e64 s[98:99], v222, v165                      // 000000012278: D0CA0062 00034BDE
	v_cndmask_b32_e64 v172, v172, 0, s[98:99]                  // 000000012280: D10000AC 018901AC
	v_mov_b32_e32 v165, v168                                   // 000000012288: 7F4A03A8
	v_mul_f32_e32 v172, s46, v172                              // 00000001228C: 0B59582E
	v_exp_f32_e32 v172, v172                                   // 000000012290: 7F5841AC
	v_sub_f32_e32 v174, v166, v169                             // 000000012294: 055D53A6
	v_cmp_eq_u32_e64 s[98:99], v222, v166                      // 000000012298: D0CA0062 00034DDE
	v_cndmask_b32_e64 v174, v174, 0, s[98:99]                  // 0000000122A0: D10000AE 018901AE
	v_mov_b32_e32 v166, v169                                   // 0000000122A8: 7F4C03A9
	v_mul_f32_e32 v174, s46, v174                              // 0000000122AC: 0B5D5C2E
	v_exp_f32_e32 v174, v174                                   // 0000000122B0: 7F5C41AE
	v_mov_b32_e32 v171, v170                                   // 0000000122B4: 7F5603AA
	v_mov_b32_e32 v173, v172                                   // 0000000122B8: 7F5A03AC
	v_mov_b32_e32 v175, v174                                   // 0000000122BC: 7F5E03AE
	s_waitcnt lgkmcnt(0)                                       // 0000000122C0: BF8CC07F
	s_barrier                                                  // 0000000122C4: BF8A0000
	buffer_load_dword v156, v236, s[24:27], 0 offen            // 0000000122C8: E0501000 80069CEC
	v_mul_f32_e32 v176, v170, v176                             // 0000000122D0: 0B6161AA
	v_mov_b32_e32 v177, 0                                      // 0000000122D4: 7F620280
	v_pk_add_f32 v[176:177], v[4:5], v[176:177]                // 0000000122D8: D3B240B0 18036104
	v_pk_add_f32 v[176:177], v[6:7], v[176:177]                // 0000000122E0: D3B240B0 18036106
	v_pk_add_f32 v[176:177], v[8:9], v[176:177]                // 0000000122E8: D3B240B0 18036108
	v_pk_add_f32 v[176:177], v[10:11], v[176:177]              // 0000000122F0: D3B240B0 1803610A
	v_pk_add_f32 v[176:177], v[12:13], v[176:177]              // 0000000122F8: D3B240B0 1803610C
	v_pk_add_f32 v[176:177], v[14:15], v[176:177]              // 000000012300: D3B240B0 1803610E
	v_pk_add_f32 v[176:177], v[16:17], v[176:177]              // 000000012308: D3B240B0 18036110
	v_pk_add_f32 v[176:177], v[18:19], v[176:177]              // 000000012310: D3B240B0 18036112
	v_add_f32_e32 v176, v177, v176                             // 000000012318: 036161B1
	v_mul_f32_e32 v178, v172, v178                             // 00000001231C: 0B6565AC
	v_mov_b32_e32 v179, 0                                      // 000000012320: 7F660280
	v_pk_add_f32 v[178:179], v[20:21], v[178:179]              // 000000012324: D3B240B2 18036514
	v_pk_add_f32 v[178:179], v[22:23], v[178:179]              // 00000001232C: D3B240B2 18036516
	v_pk_add_f32 v[178:179], v[24:25], v[178:179]              // 000000012334: D3B240B2 18036518
	v_pk_add_f32 v[178:179], v[26:27], v[178:179]              // 00000001233C: D3B240B2 1803651A
	v_pk_add_f32 v[178:179], v[28:29], v[178:179]              // 000000012344: D3B240B2 1803651C
	v_pk_add_f32 v[178:179], v[30:31], v[178:179]              // 00000001234C: D3B240B2 1803651E
	v_pk_add_f32 v[178:179], v[32:33], v[178:179]              // 000000012354: D3B240B2 18036520
	v_pk_add_f32 v[178:179], v[34:35], v[178:179]              // 00000001235C: D3B240B2 18036522
	v_add_f32_e32 v178, v179, v178                             // 000000012364: 036565B3
	v_mul_f32_e32 v180, v174, v180                             // 000000012368: 0B6969AE
	v_mov_b32_e32 v181, 0                                      // 00000001236C: 7F6A0280
	v_pk_add_f32 v[180:181], v[36:37], v[180:181]              // 000000012370: D3B240B4 18036924
	v_pk_add_f32 v[180:181], v[38:39], v[180:181]              // 000000012378: D3B240B4 18036926
	;; [unrolled: 1-line block ×3, first 2 shown]
	v_pk_add_f32 v[180:181], v[42:43], v[180:181]              // 000000012388: D3B240B4 1803692A
	v_pk_add_f32 v[180:181], v[44:45], v[180:181]              // 000000012390: D3B240B4 1803692C
	v_pk_add_f32 v[180:181], v[46:47], v[180:181]              // 000000012398: D3B240B4 1803692E
	v_pk_add_f32 v[180:181], v[48:49], v[180:181]              // 0000000123A0: D3B240B4 18036930
	v_pk_add_f32 v[180:181], v[50:51], v[180:181]              // 0000000123A8: D3B240B4 18036932
	v_add_f32_e32 v180, v181, v180                             // 0000000123B0: 036969B5
	s_waitcnt lgkmcnt(0)                                       // 0000000123B4: BF8CC07F
	v_sub_f32_e32 v182, v182, v164                             // 0000000123B8: 056D49B6
	v_sub_f32_e32 v183, v183, v165                             // 0000000123BC: 056F4BB7
	v_sub_f32_e32 v184, v184, v166                             // 0000000123C0: 05714DB8
	v_mul_f32_e32 v182, s46, v182                              // 0000000123C4: 0B6D6C2E
	v_mul_f32_e32 v183, s46, v183                              // 0000000123C8: 0B6F6E2E
	v_mul_f32_e32 v184, s46, v184                              // 0000000123CC: 0B71702E
	v_exp_f32_e32 v182, v182                                   // 0000000123D0: 7F6C41B6
	v_exp_f32_e32 v183, v183                                   // 0000000123D4: 7F6E41B7
	v_exp_f32_e32 v184, v184                                   // 0000000123D8: 7F7041B8
	v_mul_f32_e32 v182, v157, v182                             // 0000000123DC: 0B6D6D9D
	v_mul_f32_e32 v183, v157, v183                             // 0000000123E0: 0B6F6F9D
	v_mul_f32_e32 v184, v157, v184                             // 0000000123E4: 0B71719D
	v_add_f32_e32 v182, 0x3089705f, v182                       // 0000000123E8: 036D6CFF 3089705F
	v_add_f32_e32 v183, 0x3089705f, v183                       // 0000000123F0: 036F6EFF 3089705F
	v_add_f32_e32 v184, 0x3089705f, v184                       // 0000000123F8: 037170FF 3089705F
	v_rcp_f32_e32 v182, v182                                   // 000000012400: 7F6C45B6
	v_rcp_f32_e32 v183, v183                                   // 000000012404: 7F6E45B7
	v_rcp_f32_e32 v184, v184                                   // 000000012408: 7F7045B8
	v_mul_f32_e32 v182, 0x43700000, v182                       // 00000001240C: 0B6D6CFF 43700000
	v_mul_f32_e32 v183, 0x43700000, v183                       // 000000012414: 0B6F6EFF 43700000
	v_mul_f32_e32 v184, 0x43700000, v184                       // 00000001241C: 0B7170FF 43700000
	v_mov_b32_e32 v186, v184                                   // 000000012424: 7F7403B8
	v_mov_b32_e32 v187, v184                                   // 000000012428: 7F7603B8
	v_mov_b32_e32 v184, v183                                   // 00000001242C: 7F7003B7
	v_mov_b32_e32 v185, v183                                   // 000000012430: 7F7203B7
	v_mov_b32_e32 v183, v182                                   // 000000012434: 7F6E03B6
	v_pk_mul_f32 v[4:5], v[182:183], v[52:53]                  // 000000012438: D3B14004 180269B6
	v_pk_mul_f32 v[6:7], v[182:183], v[54:55]                  // 000000012440: D3B14006 18026DB6
	v_pk_mul_f32 v[8:9], v[182:183], v[56:57]                  // 000000012448: D3B14008 180271B6
	v_pk_mul_f32 v[10:11], v[182:183], v[58:59]                // 000000012450: D3B1400A 180275B6
	v_pk_mul_f32 v[12:13], v[182:183], v[60:61]                // 000000012458: D3B1400C 180279B6
	v_pk_mul_f32 v[14:15], v[182:183], v[62:63]                // 000000012460: D3B1400E 18027DB6
	v_pk_mul_f32 v[16:17], v[182:183], v[64:65]                // 000000012468: D3B14010 180281B6
	v_pk_mul_f32 v[18:19], v[182:183], v[66:67]                // 000000012470: D3B14012 180285B6
	v_pk_mul_f32 v[20:21], v[184:185], v[68:69]                // 000000012478: D3B14014 180289B8
	v_pk_mul_f32 v[22:23], v[184:185], v[70:71]                // 000000012480: D3B14016 18028DB8
	v_pk_mul_f32 v[24:25], v[184:185], v[72:73]                // 000000012488: D3B14018 180291B8
	v_pk_mul_f32 v[26:27], v[184:185], v[74:75]                // 000000012490: D3B1401A 180295B8
	v_pk_mul_f32 v[28:29], v[184:185], v[76:77]                // 000000012498: D3B1401C 180299B8
	v_pk_mul_f32 v[30:31], v[184:185], v[78:79]                // 0000000124A0: D3B1401E 18029DB8
	v_pk_mul_f32 v[32:33], v[184:185], v[80:81]                // 0000000124A8: D3B14020 1802A1B8
	v_pk_mul_f32 v[34:35], v[184:185], v[82:83]                // 0000000124B0: D3B14022 1802A5B8
	v_pk_mul_f32 v[36:37], v[186:187], v[84:85]                // 0000000124B8: D3B14024 1802A9BA
	v_pk_mul_f32 v[38:39], v[186:187], v[86:87]                // 0000000124C0: D3B14026 1802ADBA
	v_pk_mul_f32 v[40:41], v[186:187], v[88:89]                // 0000000124C8: D3B14028 1802B1BA
	v_pk_mul_f32 v[42:43], v[186:187], v[90:91]                // 0000000124D0: D3B1402A 1802B5BA
	v_pk_mul_f32 v[44:45], v[186:187], v[92:93]                // 0000000124D8: D3B1402C 1802B9BA
	v_pk_mul_f32 v[46:47], v[186:187], v[94:95]                // 0000000124E0: D3B1402E 1802BDBA
	v_pk_mul_f32 v[48:49], v[186:187], v[96:97]                // 0000000124E8: D3B14030 1802C1BA
	v_pk_mul_f32 v[50:51], v[186:187], v[98:99]                // 0000000124F0: D3B14032 1802C5BA
	v_cvt_pk_fp8_f32 v4, v4, v5                                // 0000000124F8: D2A20004 00020B04
	v_cvt_pk_fp8_f32 v4, v6, v7 op_sel:[0,0,1]                 // 000000012500: D2A24004 00020F06
	v_cvt_pk_fp8_f32 v5, v8, v9                                // 000000012508: D2A20005 00021308
	v_cvt_pk_fp8_f32 v5, v10, v11 op_sel:[0,0,1]               // 000000012510: D2A24005 0002170A
	v_cvt_pk_fp8_f32 v6, v12, v13                              // 000000012518: D2A20006 00021B0C
	v_cvt_pk_fp8_f32 v6, v14, v15 op_sel:[0,0,1]               // 000000012520: D2A24006 00021F0E
	v_cvt_pk_fp8_f32 v7, v16, v17                              // 000000012528: D2A20007 00022310
	v_cvt_pk_fp8_f32 v7, v18, v19 op_sel:[0,0,1]               // 000000012530: D2A24007 00022712
	v_cvt_pk_fp8_f32 v8, v20, v21                              // 000000012538: D2A20008 00022B14
	v_cvt_pk_fp8_f32 v8, v22, v23 op_sel:[0,0,1]               // 000000012540: D2A24008 00022F16
	v_cvt_pk_fp8_f32 v9, v24, v25                              // 000000012548: D2A20009 00023318
	v_cvt_pk_fp8_f32 v9, v26, v27 op_sel:[0,0,1]               // 000000012550: D2A24009 0002371A
	v_cvt_pk_fp8_f32 v10, v28, v29                             // 000000012558: D2A2000A 00023B1C
	v_cvt_pk_fp8_f32 v10, v30, v31 op_sel:[0,0,1]              // 000000012560: D2A2400A 00023F1E
	v_cvt_pk_fp8_f32 v11, v32, v33                             // 000000012568: D2A2000B 00024320
	v_cvt_pk_fp8_f32 v11, v34, v35 op_sel:[0,0,1]              // 000000012570: D2A2400B 00024722
	v_cvt_pk_fp8_f32 v12, v36, v37                             // 000000012578: D2A2000C 00024B24
	v_cvt_pk_fp8_f32 v12, v38, v39 op_sel:[0,0,1]              // 000000012580: D2A2400C 00024F26
	v_cvt_pk_fp8_f32 v13, v40, v41                             // 000000012588: D2A2000D 00025328
	v_cvt_pk_fp8_f32 v13, v42, v43 op_sel:[0,0,1]              // 000000012590: D2A2400D 0002572A
	v_cvt_pk_fp8_f32 v14, v44, v45                             // 000000012598: D2A2000E 00025B2C
	v_cvt_pk_fp8_f32 v14, v46, v47 op_sel:[0,0,1]              // 0000000125A0: D2A2400E 00025F2E
	v_cvt_pk_fp8_f32 v15, v48, v49                             // 0000000125A8: D2A2000F 00026330
	v_cvt_pk_fp8_f32 v15, v50, v51 op_sel:[0,0,1]              // 0000000125B0: D2A2400F 00026732
	ds_write_b32 v251, v4 offset:8192                          // 0000000125B8: D81A2000 000004FB
	ds_write_b32 v251, v5 offset:9216                          // 0000000125C0: D81A2400 000005FB
	ds_write_b32 v251, v6 offset:10240                         // 0000000125C8: D81A2800 000006FB
	ds_write_b32 v251, v7 offset:11264                         // 0000000125D0: D81A2C00 000007FB
	ds_write_b32 v251, v8 offset:12288                         // 0000000125D8: D81A3000 000008FB
	ds_write_b32 v251, v9 offset:13312                         // 0000000125E0: D81A3400 000009FB
	ds_write_b32 v251, v10 offset:14336                        // 0000000125E8: D81A3800 00000AFB
	ds_write_b32 v251, v11 offset:15360                        // 0000000125F0: D81A3C00 00000BFB
	ds_write_b32 v251, v12 offset:16384                        // 0000000125F8: D81A4000 00000CFB
	ds_write_b32 v251, v13 offset:17408                        // 000000012600: D81A4400 00000DFB
	ds_write_b32 v251, v14 offset:18432                        // 000000012608: D81A4800 00000EFB
	ds_write_b32 v251, v15 offset:19456                        // 000000012610: D81A4C00 00000FFB
	v_rcp_f32_e32 v158, v182                                   // 000000012618: 7F3C45B6
	v_rcp_f32_e32 v160, v184                                   // 00000001261C: 7F4045B8
	v_rcp_f32_e32 v162, v186                                   // 000000012620: 7F4445BA
	v_mov_b32_e32 v159, v158                                   // 000000012624: 7F3E039E
	v_mov_b32_e32 v161, v160                                   // 000000012628: 7F4203A0
	v_mov_b32_e32 v163, v162                                   // 00000001262C: 7F4603A2
	v_pk_add_f32 v[124:125], v[124:125], v[100:101]            // 000000012630: D3B2407C 1802C97C
	v_pk_add_f32 v[126:127], v[126:127], v[102:103]            // 000000012638: D3B2407E 1802CD7E
	v_pk_add_f32 v[128:129], v[128:129], v[104:105]            // 000000012640: D3B24080 1802D180
	v_pk_add_f32 v[130:131], v[130:131], v[106:107]            // 000000012648: D3B24082 1802D582
	v_pk_add_f32 v[132:133], v[132:133], v[108:109]            // 000000012650: D3B24084 1802D984
	v_pk_add_f32 v[134:135], v[134:135], v[110:111]            // 000000012658: D3B24086 1802DD86
	v_pk_add_f32 v[136:137], v[136:137], v[112:113]            // 000000012660: D3B24088 1802E188
	v_pk_add_f32 v[138:139], v[138:139], v[114:115]            // 000000012668: D3B2408A 1802E58A
	v_pk_add_f32 v[140:141], v[140:141], v[116:117]            // 000000012670: D3B2408C 1802E98C
	v_pk_add_f32 v[142:143], v[142:143], v[118:119]            // 000000012678: D3B2408E 1802ED8E
	v_pk_add_f32 v[144:145], v[144:145], v[120:121]            // 000000012680: D3B24090 1802F190
	v_pk_add_f32 v[146:147], v[146:147], v[122:123]            // 000000012688: D3B24092 1802F592
	s_waitcnt lgkmcnt(0)                                       // 000000012690: BF8CC07F
	s_barrier                                                  // 000000012694: BF8A0000
	ds_read_b128 v[4:7], v252 offset:8192                      // 000000012698: D9FE2000 040000FC
	ds_read_b128 v[8:11], v252 offset:9216                     // 0000000126A0: D9FE2400 080000FC
	ds_read_b128 v[12:15], v252 offset:10240                   // 0000000126A8: D9FE2800 0C0000FC
	ds_read_b128 v[16:19], v252 offset:11264                   // 0000000126B0: D9FE2C00 100000FC
	ds_read_b128 v[20:23], v252 offset:12288                   // 0000000126B8: D9FE3000 140000FC
	ds_read_b128 v[24:27], v252 offset:13312                   // 0000000126C0: D9FE3400 180000FC
	ds_read_b128 v[28:31], v252 offset:14336                   // 0000000126C8: D9FE3800 1C0000FC
	ds_read_b128 v[32:35], v252 offset:15360                   // 0000000126D0: D9FE3C00 200000FC
	ds_read_b128 v[36:39], v252 offset:16384                   // 0000000126D8: D9FE4000 240000FC
	ds_read_b128 v[40:43], v252 offset:17408                   // 0000000126E0: D9FE4400 280000FC
	ds_read_b128 v[44:47], v252 offset:18432                   // 0000000126E8: D9FE4800 2C0000FC
	ds_read_b128 v[48:51], v252 offset:19456                   // 0000000126F0: D9FE4C00 300000FC
	s_waitcnt vmcnt(10)                                        // 0000000126F8: BF8C0F7A
	v_lshrrev_b32_e32 v211, 4, v0                              // 0000000126FC: 21A60084
	v_lshlrev_b32_e32 v211, 4, v211                            // 000000012700: 25A7A684
	v_add_u32_e32 v204, s64, v211                              // 000000012704: 6999A640
	v_add_u32_e32 v204, 4, v204                                // 000000012708: 69999884
	v_sub_i32 v204, v204, s62                                  // 00000001270C: D29D00CC 00007DCC
	s_mov_b32 s54, 0                                           // 000000012714: BEB60080
	v_add_i32 v205, s54, v204                                  // 000000012718: D29C00CD 00039836
	v_cmp_lt_i32_e64 vcc, v205, 4                              // 000000012720: D0C1006A 000109CD
	v_min_u32_e32 v205, 4, v205                                // 000000012728: 1D9B9A84
	v_lshlrev_b32_e32 v205, 3, v205                            // 00000001272C: 259B9A83
	v_lshrrev_b32_e64 v206, v205, -1                           // 000000012730: D11000CE 000183CD
	v_accvgpr_read_b32 v207, a120                              // 000000012738: D3D840CF 18000178
	v_cndmask_b32_e32 v207, 0, v207, vcc                       // 000000012740: 019F9E80
	v_and_b32_e32 v207, v207, v206                             // 000000012744: 279F9DCF
	v_accvgpr_write_b32 a120, v207                             // 000000012748: D3D94078 180001CF
	v_accvgpr_read_b32 v207, a136                              // 000000012750: D3D840CF 18000188
	v_cndmask_b32_e32 v207, 0, v207, vcc                       // 000000012758: 019F9E80
	v_and_b32_e32 v207, v207, v206                             // 00000001275C: 279F9DCF
	v_accvgpr_write_b32 a136, v207                             // 000000012760: D3D94088 180001CF
	s_mov_b32 s54, 4                                           // 000000012768: BEB60084
	v_add_i32 v205, s54, v204                                  // 00000001276C: D29C00CD 00039836
	v_cmp_lt_i32_e64 vcc, v205, 4                              // 000000012774: D0C1006A 000109CD
	v_min_u32_e32 v205, 4, v205                                // 00000001277C: 1D9B9A84
	v_lshlrev_b32_e32 v205, 3, v205                            // 000000012780: 259B9A83
	v_lshrrev_b32_e64 v206, v205, -1                           // 000000012784: D11000CE 000183CD
	v_accvgpr_read_b32 v207, a121                              // 00000001278C: D3D840CF 18000179
	v_cndmask_b32_e32 v207, 0, v207, vcc                       // 000000012794: 019F9E80
	v_and_b32_e32 v207, v207, v206                             // 000000012798: 279F9DCF
	v_accvgpr_write_b32 a121, v207                             // 00000001279C: D3D94079 180001CF
	v_accvgpr_read_b32 v207, a137                              // 0000000127A4: D3D840CF 18000189
	v_cndmask_b32_e32 v207, 0, v207, vcc                       // 0000000127AC: 019F9E80
	v_and_b32_e32 v207, v207, v206                             // 0000000127B0: 279F9DCF
	v_accvgpr_write_b32 a137, v207                             // 0000000127B4: D3D94089 180001CF
	s_mov_b32 s54, 8                                           // 0000000127BC: BEB60088
	v_add_i32 v205, s54, v204                                  // 0000000127C0: D29C00CD 00039836
	v_cmp_lt_i32_e64 vcc, v205, 4                              // 0000000127C8: D0C1006A 000109CD
	v_min_u32_e32 v205, 4, v205                                // 0000000127D0: 1D9B9A84
	v_lshlrev_b32_e32 v205, 3, v205                            // 0000000127D4: 259B9A83
	v_lshrrev_b32_e64 v206, v205, -1                           // 0000000127D8: D11000CE 000183CD
	v_accvgpr_read_b32 v207, a122                              // 0000000127E0: D3D840CF 1800017A
	v_cndmask_b32_e32 v207, 0, v207, vcc                       // 0000000127E8: 019F9E80
	v_and_b32_e32 v207, v207, v206                             // 0000000127EC: 279F9DCF
	v_accvgpr_write_b32 a122, v207                             // 0000000127F0: D3D9407A 180001CF
	v_accvgpr_read_b32 v207, a138                              // 0000000127F8: D3D840CF 1800018A
	v_cndmask_b32_e32 v207, 0, v207, vcc                       // 000000012800: 019F9E80
	v_and_b32_e32 v207, v207, v206                             // 000000012804: 279F9DCF
	v_accvgpr_write_b32 a138, v207                             // 000000012808: D3D9408A 180001CF
	s_mov_b32 s54, 12                                          // 000000012810: BEB6008C
	v_add_i32 v205, s54, v204                                  // 000000012814: D29C00CD 00039836
	v_cmp_lt_i32_e64 vcc, v205, 4                              // 00000001281C: D0C1006A 000109CD
	v_min_u32_e32 v205, 4, v205                                // 000000012824: 1D9B9A84
	v_lshlrev_b32_e32 v205, 3, v205                            // 000000012828: 259B9A83
	v_lshrrev_b32_e64 v206, v205, -1                           // 00000001282C: D11000CE 000183CD
	v_accvgpr_read_b32 v207, a123                              // 000000012834: D3D840CF 1800017B
	v_cndmask_b32_e32 v207, 0, v207, vcc                       // 00000001283C: 019F9E80
	v_and_b32_e32 v207, v207, v206                             // 000000012840: 279F9DCF
	v_accvgpr_write_b32 a123, v207                             // 000000012844: D3D9407B 180001CF
	v_accvgpr_read_b32 v207, a139                              // 00000001284C: D3D840CF 1800018B
	v_cndmask_b32_e32 v207, 0, v207, vcc                       // 000000012854: 019F9E80
	v_and_b32_e32 v207, v207, v206                             // 000000012858: 279F9DCF
	v_accvgpr_write_b32 a139, v207                             // 00000001285C: D3D9408B 180001CF
	s_mov_b32 s54, 64                                          // 000000012864: BEB600C0
	v_add_i32 v205, s54, v204                                  // 000000012868: D29C00CD 00039836
	v_cmp_lt_i32_e64 vcc, v205, 4                              // 000000012870: D0C1006A 000109CD
	v_min_u32_e32 v205, 4, v205                                // 000000012878: 1D9B9A84
	v_lshlrev_b32_e32 v205, 3, v205                            // 00000001287C: 259B9A83
	v_lshrrev_b32_e64 v206, v205, -1                           // 000000012880: D11000CE 000183CD
	v_accvgpr_read_b32 v207, a124                              // 000000012888: D3D840CF 1800017C
	v_cndmask_b32_e32 v207, 0, v207, vcc                       // 000000012890: 019F9E80
	v_and_b32_e32 v207, v207, v206                             // 000000012894: 279F9DCF
	v_accvgpr_write_b32 a124, v207                             // 000000012898: D3D9407C 180001CF
	v_accvgpr_read_b32 v207, a140                              // 0000000128A0: D3D840CF 1800018C
	v_cndmask_b32_e32 v207, 0, v207, vcc                       // 0000000128A8: 019F9E80
	v_and_b32_e32 v207, v207, v206                             // 0000000128AC: 279F9DCF
	v_accvgpr_write_b32 a140, v207                             // 0000000128B0: D3D9408C 180001CF
	s_mov_b32 s54, 0x44                                        // 0000000128B8: BEB600FF 00000044
	v_add_i32 v205, s54, v204                                  // 0000000128C0: D29C00CD 00039836
	v_cmp_lt_i32_e64 vcc, v205, 4                              // 0000000128C8: D0C1006A 000109CD
	v_min_u32_e32 v205, 4, v205                                // 0000000128D0: 1D9B9A84
	v_lshlrev_b32_e32 v205, 3, v205                            // 0000000128D4: 259B9A83
	v_lshrrev_b32_e64 v206, v205, -1                           // 0000000128D8: D11000CE 000183CD
	v_accvgpr_read_b32 v207, a125                              // 0000000128E0: D3D840CF 1800017D
	v_cndmask_b32_e32 v207, 0, v207, vcc                       // 0000000128E8: 019F9E80
	v_and_b32_e32 v207, v207, v206                             // 0000000128EC: 279F9DCF
	v_accvgpr_write_b32 a125, v207                             // 0000000128F0: D3D9407D 180001CF
	v_accvgpr_read_b32 v207, a141                              // 0000000128F8: D3D840CF 1800018D
	v_cndmask_b32_e32 v207, 0, v207, vcc                       // 000000012900: 019F9E80
	v_and_b32_e32 v207, v207, v206                             // 000000012904: 279F9DCF
	v_accvgpr_write_b32 a141, v207                             // 000000012908: D3D9408D 180001CF
	s_mov_b32 s54, 0x48                                        // 000000012910: BEB600FF 00000048
	v_add_i32 v205, s54, v204                                  // 000000012918: D29C00CD 00039836
	v_cmp_lt_i32_e64 vcc, v205, 4                              // 000000012920: D0C1006A 000109CD
	v_min_u32_e32 v205, 4, v205                                // 000000012928: 1D9B9A84
	v_lshlrev_b32_e32 v205, 3, v205                            // 00000001292C: 259B9A83
	v_lshrrev_b32_e64 v206, v205, -1                           // 000000012930: D11000CE 000183CD
	v_accvgpr_read_b32 v207, a126                              // 000000012938: D3D840CF 1800017E
	v_cndmask_b32_e32 v207, 0, v207, vcc                       // 000000012940: 019F9E80
	v_and_b32_e32 v207, v207, v206                             // 000000012944: 279F9DCF
	v_accvgpr_write_b32 a126, v207                             // 000000012948: D3D9407E 180001CF
	v_accvgpr_read_b32 v207, a142                              // 000000012950: D3D840CF 1800018E
	v_cndmask_b32_e32 v207, 0, v207, vcc                       // 000000012958: 019F9E80
	v_and_b32_e32 v207, v207, v206                             // 00000001295C: 279F9DCF
	v_accvgpr_write_b32 a142, v207                             // 000000012960: D3D9408E 180001CF
	s_mov_b32 s54, 0x4c                                        // 000000012968: BEB600FF 0000004C
	v_add_i32 v205, s54, v204                                  // 000000012970: D29C00CD 00039836
	v_cmp_lt_i32_e64 vcc, v205, 4                              // 000000012978: D0C1006A 000109CD
	v_min_u32_e32 v205, 4, v205                                // 000000012980: 1D9B9A84
	v_lshlrev_b32_e32 v205, 3, v205                            // 000000012984: 259B9A83
	v_lshrrev_b32_e64 v206, v205, -1                           // 000000012988: D11000CE 000183CD
	v_accvgpr_read_b32 v207, a127                              // 000000012990: D3D840CF 1800017F
	v_cndmask_b32_e32 v207, 0, v207, vcc                       // 000000012998: 019F9E80
	v_and_b32_e32 v207, v207, v206                             // 00000001299C: 279F9DCF
	v_accvgpr_write_b32 a127, v207                             // 0000000129A0: D3D9407F 180001CF
	v_accvgpr_read_b32 v207, a143                              // 0000000129A8: D3D840CF 1800018F
	v_cndmask_b32_e32 v207, 0, v207, vcc                       // 0000000129B0: 019F9E80
	v_and_b32_e32 v207, v207, v206                             // 0000000129B4: 279F9DCF
	v_accvgpr_write_b32 a143, v207                             // 0000000129B8: D3D9408F 180001CF
	s_mov_b32 s54, 0x80                                        // 0000000129C0: BEB600FF 00000080
	v_add_i32 v205, s54, v204                                  // 0000000129C8: D29C00CD 00039836
	v_cmp_lt_i32_e64 vcc, v205, 4                              // 0000000129D0: D0C1006A 000109CD
	v_min_u32_e32 v205, 4, v205                                // 0000000129D8: 1D9B9A84
	v_lshlrev_b32_e32 v205, 3, v205                            // 0000000129DC: 259B9A83
	v_lshrrev_b32_e64 v206, v205, -1                           // 0000000129E0: D11000CE 000183CD
	v_accvgpr_read_b32 v207, a128                              // 0000000129E8: D3D840CF 18000180
	v_cndmask_b32_e32 v207, 0, v207, vcc                       // 0000000129F0: 019F9E80
	v_and_b32_e32 v207, v207, v206                             // 0000000129F4: 279F9DCF
	v_accvgpr_write_b32 a128, v207                             // 0000000129F8: D3D94080 180001CF
	v_accvgpr_read_b32 v207, a144                              // 000000012A00: D3D840CF 18000190
	v_cndmask_b32_e32 v207, 0, v207, vcc                       // 000000012A08: 019F9E80
	v_and_b32_e32 v207, v207, v206                             // 000000012A0C: 279F9DCF
	v_accvgpr_write_b32 a144, v207                             // 000000012A10: D3D94090 180001CF
	s_mov_b32 s54, 0x84                                        // 000000012A18: BEB600FF 00000084
	v_add_i32 v205, s54, v204                                  // 000000012A20: D29C00CD 00039836
	v_cmp_lt_i32_e64 vcc, v205, 4                              // 000000012A28: D0C1006A 000109CD
	v_min_u32_e32 v205, 4, v205                                // 000000012A30: 1D9B9A84
	v_lshlrev_b32_e32 v205, 3, v205                            // 000000012A34: 259B9A83
	v_lshrrev_b32_e64 v206, v205, -1                           // 000000012A38: D11000CE 000183CD
	v_accvgpr_read_b32 v207, a129                              // 000000012A40: D3D840CF 18000181
	v_cndmask_b32_e32 v207, 0, v207, vcc                       // 000000012A48: 019F9E80
	v_and_b32_e32 v207, v207, v206                             // 000000012A4C: 279F9DCF
	v_accvgpr_write_b32 a129, v207                             // 000000012A50: D3D94081 180001CF
	v_accvgpr_read_b32 v207, a145                              // 000000012A58: D3D840CF 18000191
	v_cndmask_b32_e32 v207, 0, v207, vcc                       // 000000012A60: 019F9E80
	v_and_b32_e32 v207, v207, v206                             // 000000012A64: 279F9DCF
	v_accvgpr_write_b32 a145, v207                             // 000000012A68: D3D94091 180001CF
	s_mov_b32 s54, 0x88                                        // 000000012A70: BEB600FF 00000088
	v_add_i32 v205, s54, v204                                  // 000000012A78: D29C00CD 00039836
	v_cmp_lt_i32_e64 vcc, v205, 4                              // 000000012A80: D0C1006A 000109CD
	v_min_u32_e32 v205, 4, v205                                // 000000012A88: 1D9B9A84
	v_lshlrev_b32_e32 v205, 3, v205                            // 000000012A8C: 259B9A83
	v_lshrrev_b32_e64 v206, v205, -1                           // 000000012A90: D11000CE 000183CD
	v_accvgpr_read_b32 v207, a130                              // 000000012A98: D3D840CF 18000182
	v_cndmask_b32_e32 v207, 0, v207, vcc                       // 000000012AA0: 019F9E80
	v_and_b32_e32 v207, v207, v206                             // 000000012AA4: 279F9DCF
	v_accvgpr_write_b32 a130, v207                             // 000000012AA8: D3D94082 180001CF
	v_accvgpr_read_b32 v207, a146                              // 000000012AB0: D3D840CF 18000192
	v_cndmask_b32_e32 v207, 0, v207, vcc                       // 000000012AB8: 019F9E80
	v_and_b32_e32 v207, v207, v206                             // 000000012ABC: 279F9DCF
	v_accvgpr_write_b32 a146, v207                             // 000000012AC0: D3D94092 180001CF
	s_mov_b32 s54, 0x8c                                        // 000000012AC8: BEB600FF 0000008C
	v_add_i32 v205, s54, v204                                  // 000000012AD0: D29C00CD 00039836
	v_cmp_lt_i32_e64 vcc, v205, 4                              // 000000012AD8: D0C1006A 000109CD
	v_min_u32_e32 v205, 4, v205                                // 000000012AE0: 1D9B9A84
	v_lshlrev_b32_e32 v205, 3, v205                            // 000000012AE4: 259B9A83
	v_lshrrev_b32_e64 v206, v205, -1                           // 000000012AE8: D11000CE 000183CD
	v_accvgpr_read_b32 v207, a131                              // 000000012AF0: D3D840CF 18000183
	v_cndmask_b32_e32 v207, 0, v207, vcc                       // 000000012AF8: 019F9E80
	v_and_b32_e32 v207, v207, v206                             // 000000012AFC: 279F9DCF
	v_accvgpr_write_b32 a131, v207                             // 000000012B00: D3D94083 180001CF
	v_accvgpr_read_b32 v207, a147                              // 000000012B08: D3D840CF 18000193
	v_cndmask_b32_e32 v207, 0, v207, vcc                       // 000000012B10: 019F9E80
	v_and_b32_e32 v207, v207, v206                             // 000000012B14: 279F9DCF
	v_accvgpr_write_b32 a147, v207                             // 000000012B18: D3D94093 180001CF
	s_mov_b32 s54, 0xc0                                        // 000000012B20: BEB600FF 000000C0
	v_add_i32 v205, s54, v204                                  // 000000012B28: D29C00CD 00039836
	v_cmp_lt_i32_e64 vcc, v205, 4                              // 000000012B30: D0C1006A 000109CD
	v_min_u32_e32 v205, 4, v205                                // 000000012B38: 1D9B9A84
	v_lshlrev_b32_e32 v205, 3, v205                            // 000000012B3C: 259B9A83
	v_lshrrev_b32_e64 v206, v205, -1                           // 000000012B40: D11000CE 000183CD
	v_accvgpr_read_b32 v207, a132                              // 000000012B48: D3D840CF 18000184
	v_cndmask_b32_e32 v207, 0, v207, vcc                       // 000000012B50: 019F9E80
	v_and_b32_e32 v207, v207, v206                             // 000000012B54: 279F9DCF
	v_accvgpr_write_b32 a132, v207                             // 000000012B58: D3D94084 180001CF
	v_accvgpr_read_b32 v207, a148                              // 000000012B60: D3D840CF 18000194
	v_cndmask_b32_e32 v207, 0, v207, vcc                       // 000000012B68: 019F9E80
	v_and_b32_e32 v207, v207, v206                             // 000000012B6C: 279F9DCF
	v_accvgpr_write_b32 a148, v207                             // 000000012B70: D3D94094 180001CF
	s_mov_b32 s54, 0xc4                                        // 000000012B78: BEB600FF 000000C4
	v_add_i32 v205, s54, v204                                  // 000000012B80: D29C00CD 00039836
	v_cmp_lt_i32_e64 vcc, v205, 4                              // 000000012B88: D0C1006A 000109CD
	v_min_u32_e32 v205, 4, v205                                // 000000012B90: 1D9B9A84
	v_lshlrev_b32_e32 v205, 3, v205                            // 000000012B94: 259B9A83
	v_lshrrev_b32_e64 v206, v205, -1                           // 000000012B98: D11000CE 000183CD
	v_accvgpr_read_b32 v207, a133                              // 000000012BA0: D3D840CF 18000185
	v_cndmask_b32_e32 v207, 0, v207, vcc                       // 000000012BA8: 019F9E80
	v_and_b32_e32 v207, v207, v206                             // 000000012BAC: 279F9DCF
	v_accvgpr_write_b32 a133, v207                             // 000000012BB0: D3D94085 180001CF
	v_accvgpr_read_b32 v207, a149                              // 000000012BB8: D3D840CF 18000195
	v_cndmask_b32_e32 v207, 0, v207, vcc                       // 000000012BC0: 019F9E80
	v_and_b32_e32 v207, v207, v206                             // 000000012BC4: 279F9DCF
	v_accvgpr_write_b32 a149, v207                             // 000000012BC8: D3D94095 180001CF
	s_mov_b32 s54, 0xc8                                        // 000000012BD0: BEB600FF 000000C8
	v_add_i32 v205, s54, v204                                  // 000000012BD8: D29C00CD 00039836
	v_cmp_lt_i32_e64 vcc, v205, 4                              // 000000012BE0: D0C1006A 000109CD
	v_min_u32_e32 v205, 4, v205                                // 000000012BE8: 1D9B9A84
	v_lshlrev_b32_e32 v205, 3, v205                            // 000000012BEC: 259B9A83
	v_lshrrev_b32_e64 v206, v205, -1                           // 000000012BF0: D11000CE 000183CD
	v_accvgpr_read_b32 v207, a134                              // 000000012BF8: D3D840CF 18000186
	v_cndmask_b32_e32 v207, 0, v207, vcc                       // 000000012C00: 019F9E80
	v_and_b32_e32 v207, v207, v206                             // 000000012C04: 279F9DCF
	v_accvgpr_write_b32 a134, v207                             // 000000012C08: D3D94086 180001CF
	v_accvgpr_read_b32 v207, a150                              // 000000012C10: D3D840CF 18000196
	v_cndmask_b32_e32 v207, 0, v207, vcc                       // 000000012C18: 019F9E80
	v_and_b32_e32 v207, v207, v206                             // 000000012C1C: 279F9DCF
	v_accvgpr_write_b32 a150, v207                             // 000000012C20: D3D94096 180001CF
	s_mov_b32 s54, 0xcc                                        // 000000012C28: BEB600FF 000000CC
	v_add_i32 v205, s54, v204                                  // 000000012C30: D29C00CD 00039836
	v_cmp_lt_i32_e64 vcc, v205, 4                              // 000000012C38: D0C1006A 000109CD
	v_min_u32_e32 v205, 4, v205                                // 000000012C40: 1D9B9A84
	v_lshlrev_b32_e32 v205, 3, v205                            // 000000012C44: 259B9A83
	v_lshrrev_b32_e64 v206, v205, -1                           // 000000012C48: D11000CE 000183CD
	v_accvgpr_read_b32 v207, a135                              // 000000012C50: D3D840CF 18000187
	v_cndmask_b32_e32 v207, 0, v207, vcc                       // 000000012C58: 019F9E80
	v_and_b32_e32 v207, v207, v206                             // 000000012C5C: 279F9DCF
	v_accvgpr_write_b32 a135, v207                             // 000000012C60: D3D94087 180001CF
	v_accvgpr_read_b32 v207, a151                              // 000000012C68: D3D840CF 18000197
	v_cndmask_b32_e32 v207, 0, v207, vcc                       // 000000012C70: 019F9E80
	v_and_b32_e32 v207, v207, v206                             // 000000012C74: 279F9DCF
	v_accvgpr_write_b32 a151, v207                             // 000000012C78: D3D94097 180001CF
	s_waitcnt lgkmcnt(11)                                      // 000000012C80: BF8CCB7F
	v_mfma_f32_16x16x32_fp8_fp8 v[100:103], a[120:121], v[4:5], 0// 000000012C84: D3F30064 0A020978
	v_mfma_f32_16x16x32_fp8_fp8 v[104:107], a[136:137], v[4:5], 0// 000000012C8C: D3F30068 0A020988
	v_mfma_f32_16x16x32_fp8_fp8 v[100:103], a[122:123], v[6:7], v[100:103]// 000000012C94: D3F30064 0D920D7A
	buffer_load_dwordx4 a[88:91], v231, s[16:19], 0 offen      // 000000012C9C: E05C1000 808458E7
	v_mfma_f32_16x16x32_fp8_fp8 v[104:107], a[138:139], v[6:7], v[104:107]// 000000012CA4: D3F30068 0DA20D8A
	s_waitcnt lgkmcnt(10)                                      // 000000012CAC: BF8CCA7F
	v_mfma_f32_16x16x32_fp8_fp8 v[100:103], a[124:125], v[8:9], v[100:103]// 000000012CB0: D3F30064 0D92117C
	v_mfma_f32_16x16x32_fp8_fp8 v[104:107], a[140:141], v[8:9], v[104:107]// 000000012CB8: D3F30068 0DA2118C
	v_mfma_f32_16x16x32_fp8_fp8 v[100:103], a[126:127], v[10:11], v[100:103]// 000000012CC0: D3F30064 0D92157E
	buffer_load_dwordx4 a[92:95], v232, s[16:19], 0 offen      // 000000012CC8: E05C1000 80845CE8
	v_mfma_f32_16x16x32_fp8_fp8 v[104:107], a[142:143], v[10:11], v[104:107]// 000000012CD0: D3F30068 0DA2158E
	s_waitcnt lgkmcnt(9)                                       // 000000012CD8: BF8CC97F
	v_mfma_f32_16x16x32_fp8_fp8 v[100:103], a[128:129], v[12:13], v[100:103]// 000000012CDC: D3F30064 0D921980
	v_mfma_f32_16x16x32_fp8_fp8 v[104:107], a[144:145], v[12:13], v[104:107]// 000000012CE4: D3F30068 0DA21990
	v_mfma_f32_16x16x32_fp8_fp8 v[100:103], a[130:131], v[14:15], v[100:103]// 000000012CEC: D3F30064 0D921D82
	buffer_load_dwordx4 a[96:99], v233, s[16:19], 0 offen      // 000000012CF4: E05C1000 808460E9
	v_mfma_f32_16x16x32_fp8_fp8 v[104:107], a[146:147], v[14:15], v[104:107]// 000000012CFC: D3F30068 0DA21D92
	s_waitcnt lgkmcnt(8)                                       // 000000012D04: BF8CC87F
	v_mfma_f32_16x16x32_fp8_fp8 v[100:103], a[132:133], v[16:17], v[100:103]// 000000012D08: D3F30064 0D922184
	v_mfma_f32_16x16x32_fp8_fp8 v[104:107], a[148:149], v[16:17], v[104:107]// 000000012D10: D3F30068 0DA22194
	v_mfma_f32_16x16x32_fp8_fp8 v[100:103], a[134:135], v[18:19], v[100:103]// 000000012D18: D3F30064 0D922586
	buffer_load_dwordx4 a[100:103], v234, s[16:19], 0 offen    // 000000012D20: E05C1000 808464EA
	v_mfma_f32_16x16x32_fp8_fp8 v[104:107], a[150:151], v[18:19], v[104:107]// 000000012D28: D3F30068 0DA22596
	s_waitcnt lgkmcnt(7)                                       // 000000012D30: BF8CC77F
	v_mfma_f32_16x16x32_fp8_fp8 v[108:111], a[120:121], v[20:21], 0// 000000012D34: D3F3006C 0A022978
	v_mfma_f32_16x16x32_fp8_fp8 v[112:115], a[136:137], v[20:21], 0// 000000012D3C: D3F30070 0A022988
	v_mfma_f32_16x16x32_fp8_fp8 v[108:111], a[122:123], v[22:23], v[108:111]// 000000012D44: D3F3006C 0DB22D7A
	buffer_load_dwordx4 a[104:107], v231, s[16:19], 0 offen offset:1024// 000000012D4C: E05C1400 808468E7
	v_mfma_f32_16x16x32_fp8_fp8 v[112:115], a[138:139], v[22:23], v[112:115]// 000000012D54: D3F30070 0DC22D8A
	s_waitcnt lgkmcnt(6)                                       // 000000012D5C: BF8CC67F
	v_mfma_f32_16x16x32_fp8_fp8 v[108:111], a[124:125], v[24:25], v[108:111]// 000000012D60: D3F3006C 0DB2317C
	v_mfma_f32_16x16x32_fp8_fp8 v[112:115], a[140:141], v[24:25], v[112:115]// 000000012D68: D3F30070 0DC2318C
	v_mfma_f32_16x16x32_fp8_fp8 v[108:111], a[126:127], v[26:27], v[108:111]// 000000012D70: D3F3006C 0DB2357E
	buffer_load_dwordx4 a[108:111], v232, s[16:19], 0 offen offset:1024// 000000012D78: E05C1400 80846CE8
	v_mfma_f32_16x16x32_fp8_fp8 v[112:115], a[142:143], v[26:27], v[112:115]// 000000012D80: D3F30070 0DC2358E
	s_waitcnt lgkmcnt(5)                                       // 000000012D88: BF8CC57F
	v_mfma_f32_16x16x32_fp8_fp8 v[108:111], a[128:129], v[28:29], v[108:111]// 000000012D8C: D3F3006C 0DB23980
	v_mfma_f32_16x16x32_fp8_fp8 v[112:115], a[144:145], v[28:29], v[112:115]// 000000012D94: D3F30070 0DC23990
	v_mfma_f32_16x16x32_fp8_fp8 v[108:111], a[130:131], v[30:31], v[108:111]// 000000012D9C: D3F3006C 0DB23D82
	buffer_load_dwordx4 a[112:115], v233, s[16:19], 0 offen offset:1024// 000000012DA4: E05C1400 808470E9
	v_mfma_f32_16x16x32_fp8_fp8 v[112:115], a[146:147], v[30:31], v[112:115]// 000000012DAC: D3F30070 0DC23D92
	s_waitcnt lgkmcnt(4)                                       // 000000012DB4: BF8CC47F
	v_mfma_f32_16x16x32_fp8_fp8 v[108:111], a[132:133], v[32:33], v[108:111]// 000000012DB8: D3F3006C 0DB24184
	v_mfma_f32_16x16x32_fp8_fp8 v[112:115], a[148:149], v[32:33], v[112:115]// 000000012DC0: D3F30070 0DC24194
	v_mfma_f32_16x16x32_fp8_fp8 v[108:111], a[134:135], v[34:35], v[108:111]// 000000012DC8: D3F3006C 0DB24586
	buffer_load_dwordx4 a[116:119], v234, s[16:19], 0 offen offset:1024// 000000012DD0: E05C1400 808474EA
	v_mfma_f32_16x16x32_fp8_fp8 v[112:115], a[150:151], v[34:35], v[112:115]// 000000012DD8: D3F30070 0DC24596
	s_waitcnt lgkmcnt(3)                                       // 000000012DE0: BF8CC37F
	v_mfma_f32_16x16x32_fp8_fp8 v[116:119], a[120:121], v[36:37], 0// 000000012DE4: D3F30074 0A024978
	v_mfma_f32_16x16x32_fp8_fp8 v[120:123], a[136:137], v[36:37], 0// 000000012DEC: D3F30078 0A024988
	v_mfma_f32_16x16x32_fp8_fp8 v[116:119], a[122:123], v[38:39], v[116:119]// 000000012DF4: D3F30074 0DD24D7A
	v_mfma_f32_16x16x32_fp8_fp8 v[120:123], a[138:139], v[38:39], v[120:123]// 000000012DFC: D3F30078 0DE24D8A
	s_waitcnt lgkmcnt(2)                                       // 000000012E04: BF8CC27F
	v_mfma_f32_16x16x32_fp8_fp8 v[116:119], a[124:125], v[40:41], v[116:119]// 000000012E08: D3F30074 0DD2517C
	v_mfma_f32_16x16x32_fp8_fp8 v[120:123], a[140:141], v[40:41], v[120:123]// 000000012E10: D3F30078 0DE2518C
	v_mfma_f32_16x16x32_fp8_fp8 v[116:119], a[126:127], v[42:43], v[116:119]// 000000012E18: D3F30074 0DD2557E
	v_mfma_f32_16x16x32_fp8_fp8 v[120:123], a[142:143], v[42:43], v[120:123]// 000000012E20: D3F30078 0DE2558E
	s_waitcnt lgkmcnt(1)                                       // 000000012E28: BF8CC17F
	v_mfma_f32_16x16x32_fp8_fp8 v[116:119], a[128:129], v[44:45], v[116:119]// 000000012E2C: D3F30074 0DD25980
	v_mfma_f32_16x16x32_fp8_fp8 v[120:123], a[144:145], v[44:45], v[120:123]// 000000012E34: D3F30078 0DE25990
	v_mfma_f32_16x16x32_fp8_fp8 v[116:119], a[130:131], v[46:47], v[116:119]// 000000012E3C: D3F30074 0DD25D82
	v_mfma_f32_16x16x32_fp8_fp8 v[120:123], a[146:147], v[46:47], v[120:123]// 000000012E44: D3F30078 0DE25D92
	s_waitcnt lgkmcnt(0)                                       // 000000012E4C: BF8CC07F
	v_mfma_f32_16x16x32_fp8_fp8 v[116:119], a[132:133], v[48:49], v[116:119]// 000000012E50: D3F30074 0DD26184
	v_mfma_f32_16x16x32_fp8_fp8 v[120:123], a[148:149], v[48:49], v[120:123]// 000000012E58: D3F30078 0DE26194
	v_mfma_f32_16x16x32_fp8_fp8 v[116:119], a[134:135], v[50:51], v[116:119]// 000000012E60: D3F30074 0DD26586
	v_mfma_f32_16x16x32_fp8_fp8 v[120:123], a[150:151], v[50:51], v[120:123]// 000000012E68: D3F30078 0DE26596
	s_addk_i32 s64, 0x100                                      // 000000012E70: B7400100
	s_branch label_251C                                        // 000000012E74: BF82E2FE

0000000000012e78 <label_421E>:
	v_pk_mul_f32 v[124:125], v[170:171], v[124:125]            // 000000012E78: D3B1407C 1802F9AA
	v_pk_mul_f32 v[126:127], v[170:171], v[126:127]            // 000000012E80: D3B1407E 1802FDAA
	v_pk_mul_f32 v[128:129], v[170:171], v[128:129]            // 000000012E88: D3B14080 180301AA
	v_pk_mul_f32 v[130:131], v[170:171], v[130:131]            // 000000012E90: D3B14082 180305AA
	v_pk_mul_f32 v[132:133], v[172:173], v[132:133]            // 000000012E98: D3B14084 180309AC
	v_pk_mul_f32 v[134:135], v[172:173], v[134:135]            // 000000012EA0: D3B14086 18030DAC
	v_pk_mul_f32 v[136:137], v[172:173], v[136:137]            // 000000012EA8: D3B14088 180311AC
	v_pk_mul_f32 v[138:139], v[172:173], v[138:139]            // 000000012EB0: D3B1408A 180315AC
	v_pk_mul_f32 v[140:141], v[174:175], v[140:141]            // 000000012EB8: D3B1408C 180319AE
	v_pk_mul_f32 v[142:143], v[174:175], v[142:143]            // 000000012EC0: D3B1408E 18031DAE
	v_pk_mul_f32 v[144:145], v[174:175], v[144:145]            // 000000012EC8: D3B14090 180321AE
	v_pk_mul_f32 v[146:147], v[174:175], v[146:147]            // 000000012ED0: D3B14092 180325AE
	ds_bpermute_b32 v188, v208, v176                           // 000000012ED8: D87E0000 BC00B0D0
	ds_bpermute_b32 v189, v209, v176                           // 000000012EE0: D87E0000 BD00B0D1
	ds_bpermute_b32 v190, v210, v176                           // 000000012EE8: D87E0000 BE00B0D2
	ds_bpermute_b32 v191, v208, v178                           // 000000012EF0: D87E0000 BF00B2D0
	ds_bpermute_b32 v192, v209, v178                           // 000000012EF8: D87E0000 C000B2D1
	ds_bpermute_b32 v193, v210, v178                           // 000000012F00: D87E0000 C100B2D2
	ds_bpermute_b32 v194, v208, v180                           // 000000012F08: D87E0000 C200B4D0
	ds_bpermute_b32 v195, v209, v180                           // 000000012F10: D87E0000 C300B4D1
	ds_bpermute_b32 v196, v210, v180                           // 000000012F18: D87E0000 C400B4D2
	s_waitcnt lgkmcnt(0)                                       // 000000012F20: BF8CC07F
	v_add_f32_e32 v176, v188, v176                             // 000000012F24: 036161BC
	v_add_f32_e32 v176, v189, v176                             // 000000012F28: 036161BD
	v_add_f32_e32 v176, v190, v176                             // 000000012F2C: 036161BE
	v_add_f32_e32 v177, v191, v178                             // 000000012F30: 036365BF
	v_add_f32_e32 v177, v192, v177                             // 000000012F34: 036363C0
	v_add_f32_e32 v177, v193, v177                             // 000000012F38: 036363C1
	v_add_f32_e32 v178, v194, v180                             // 000000012F3C: 036569C2
	v_add_f32_e32 v178, v195, v178                             // 000000012F40: 036565C3
	v_add_f32_e32 v178, v196, v178                             // 000000012F44: 036565C4
	ds_write_b128 v249, v[176:179]                             // 000000012F48: D9BE0000 0000B0F9
	v_pk_mul_f32 v[100:101], v[158:159], v[100:101]            // 000000012F50: D3B14064 1802C99E
	v_pk_mul_f32 v[102:103], v[158:159], v[102:103]            // 000000012F58: D3B14066 1802CD9E
	v_pk_mul_f32 v[104:105], v[158:159], v[104:105]            // 000000012F60: D3B14068 1802D19E
	v_pk_mul_f32 v[106:107], v[158:159], v[106:107]            // 000000012F68: D3B1406A 1802D59E
	v_pk_mul_f32 v[108:109], v[160:161], v[108:109]            // 000000012F70: D3B1406C 1802D9A0
	v_pk_mul_f32 v[110:111], v[160:161], v[110:111]            // 000000012F78: D3B1406E 1802DDA0
	v_pk_mul_f32 v[112:113], v[160:161], v[112:113]            // 000000012F80: D3B14070 1802E1A0
	v_pk_mul_f32 v[114:115], v[160:161], v[114:115]            // 000000012F88: D3B14072 1802E5A0
	v_pk_mul_f32 v[116:117], v[162:163], v[116:117]            // 000000012F90: D3B14074 1802E9A2
	v_pk_mul_f32 v[118:119], v[162:163], v[118:119]            // 000000012F98: D3B14076 1802EDA2
	v_pk_mul_f32 v[120:121], v[162:163], v[120:121]            // 000000012FA0: D3B14078 1802F1A2
	v_pk_mul_f32 v[122:123], v[162:163], v[122:123]            // 000000012FA8: D3B1407A 1802F5A2
	s_waitcnt lgkmcnt(0)                                       // 000000012FB0: BF8CC07F
	s_barrier                                                  // 000000012FB4: BF8A0000
	ds_read_b128 v[188:191], v250                              // 000000012FB8: D9FE0000 BC0000FA
	ds_read_b128 v[192:195], v250 offset:256                   // 000000012FC0: D9FE0100 C00000FA
	ds_read_b128 v[196:199], v250 offset:512                   // 000000012FC8: D9FE0200 C40000FA
	ds_read_b128 v[200:203], v250 offset:768                   // 000000012FD0: D9FE0300 C80000FA
	v_pk_add_f32 v[124:125], v[124:125], v[100:101]            // 000000012FD8: D3B2407C 1802C97C
	v_pk_add_f32 v[126:127], v[126:127], v[102:103]            // 000000012FE0: D3B2407E 1802CD7E
	v_pk_add_f32 v[128:129], v[128:129], v[104:105]            // 000000012FE8: D3B24080 1802D180
	v_pk_add_f32 v[130:131], v[130:131], v[106:107]            // 000000012FF0: D3B24082 1802D582
	v_pk_add_f32 v[132:133], v[132:133], v[108:109]            // 000000012FF8: D3B24084 1802D984
	v_pk_add_f32 v[134:135], v[134:135], v[110:111]            // 000000013000: D3B24086 1802DD86
	v_pk_add_f32 v[136:137], v[136:137], v[112:113]            // 000000013008: D3B24088 1802E188
	v_pk_add_f32 v[138:139], v[138:139], v[114:115]            // 000000013010: D3B2408A 1802E58A
	v_pk_add_f32 v[140:141], v[140:141], v[116:117]            // 000000013018: D3B2408C 1802E98C
	v_pk_add_f32 v[142:143], v[142:143], v[118:119]            // 000000013020: D3B2408E 1802ED8E
	v_pk_add_f32 v[144:145], v[144:145], v[120:121]            // 000000013028: D3B24090 1802F190
	v_pk_add_f32 v[146:147], v[146:147], v[122:123]            // 000000013030: D3B24092 1802F592
	s_waitcnt lgkmcnt(0)                                       // 000000013038: BF8CC07F
	v_mov_b64_e32 v[176:177], 0                                // 00000001303C: 7F607080
	v_mov_b32_e32 v178, 0                                      // 000000013040: 7F640280
	v_add_f32_e32 v176, v188, v176                             // 000000013044: 036161BC
	v_add_f32_e32 v177, v189, v177                             // 000000013048: 036363BD
	v_add_f32_e32 v178, v190, v178                             // 00000001304C: 036565BE
	v_add_f32_e32 v176, v192, v176                             // 000000013050: 036161C0
	v_add_f32_e32 v177, v193, v177                             // 000000013054: 036363C1
	v_add_f32_e32 v178, v194, v178                             // 000000013058: 036565C2
	v_add_f32_e32 v176, v196, v176                             // 00000001305C: 036161C4
	v_add_f32_e32 v177, v197, v177                             // 000000013060: 036363C5
	v_add_f32_e32 v178, v198, v178                             // 000000013064: 036565C6
	v_add_f32_e32 v176, v200, v176                             // 000000013068: 036161C8
	v_add_f32_e32 v177, v201, v177                             // 00000001306C: 036363C9
	v_add_f32_e32 v178, v202, v178                             // 000000013070: 036565CA
	v_rcp_f32_e32 v188, v176                                   // 000000013074: 7F7845B0
	v_cmp_eq_u32_e64 s[54:55], 0, v176                         // 000000013078: D0CA0036 00036080
	s_nop 0                                                    // 000000013080: BF800000
	v_cndmask_b32_e64 v188, v188, 0, s[54:55]                  // 000000013084: D10000BC 00D901BC
	v_rcp_f32_e32 v189, v177                                   // 00000001308C: 7F7A45B1
	v_cmp_eq_u32_e64 s[54:55], 0, v177                         // 000000013090: D0CA0036 00036280
	s_nop 0                                                    // 000000013098: BF800000
	v_cndmask_b32_e64 v189, v189, 0, s[54:55]                  // 00000001309C: D10000BD 00D901BD
	v_rcp_f32_e32 v190, v178                                   // 0000000130A4: 7F7C45B2
	v_cmp_eq_u32_e64 s[54:55], 0, v178                         // 0000000130A8: D0CA0036 00036480
	s_nop 0                                                    // 0000000130B0: BF800000
	v_cndmask_b32_e64 v190, v190, 0, s[54:55]                  // 0000000130B4: D10000BE 00D901BE
	v_mul_f32_e32 v124, v188, v124                             // 0000000130BC: 0AF8F9BC
	v_mul_f32_e32 v125, v188, v125                             // 0000000130C0: 0AFAFBBC
	v_mul_f32_e32 v126, v188, v126                             // 0000000130C4: 0AFCFDBC
	v_mul_f32_e32 v127, v188, v127                             // 0000000130C8: 0AFEFFBC
	v_mul_f32_e32 v128, v188, v128                             // 0000000130CC: 0B0101BC
	v_mul_f32_e32 v129, v188, v129                             // 0000000130D0: 0B0303BC
	v_mul_f32_e32 v130, v188, v130                             // 0000000130D4: 0B0505BC
	v_mul_f32_e32 v131, v188, v131                             // 0000000130D8: 0B0707BC
	v_mul_f32_e32 v132, v189, v132                             // 0000000130DC: 0B0909BD
	v_mul_f32_e32 v133, v189, v133                             // 0000000130E0: 0B0B0BBD
	v_mul_f32_e32 v134, v189, v134                             // 0000000130E4: 0B0D0DBD
	v_mul_f32_e32 v135, v189, v135                             // 0000000130E8: 0B0F0FBD
	v_mul_f32_e32 v136, v189, v136                             // 0000000130EC: 0B1111BD
	v_mul_f32_e32 v137, v189, v137                             // 0000000130F0: 0B1313BD
	v_mul_f32_e32 v138, v189, v138                             // 0000000130F4: 0B1515BD
	v_mul_f32_e32 v139, v189, v139                             // 0000000130F8: 0B1717BD
	v_mul_f32_e32 v140, v190, v140                             // 0000000130FC: 0B1919BE
	v_mul_f32_e32 v141, v190, v141                             // 000000013100: 0B1B1BBE
	v_mul_f32_e32 v142, v190, v142                             // 000000013104: 0B1D1DBE
	v_mul_f32_e32 v143, v190, v143                             // 000000013108: 0B1F1FBE
	v_mul_f32_e32 v144, v190, v144                             // 00000001310C: 0B2121BE
	v_mul_f32_e32 v145, v190, v145                             // 000000013110: 0B2323BE
	v_mul_f32_e32 v146, v190, v146                             // 000000013114: 0B2525BE
	v_mul_f32_e32 v147, v190, v147                             // 000000013118: 0B2727BE
	s_cmp_eq_i32 s73, -1                                       // 00000001311C: BF00C149
	s_cbranch_scc0 label_438F                                  // 000000013120: BF8400C6
	v_cmp_u_f32_e64 s[98:99], v124, v124                       // 000000013124: D0480062 0002F97C
	v_add3_u32 v214, v124, v217, 1                             // 00000001312C: D1FF00D6 0207B37C
	v_cndmask_b32_e64 v204, v214, v216, s[98:99]               // 000000013134: D10000CC 018BB1D6
	v_cmp_u_f32_e64 s[98:99], v125, v125                       // 00000001313C: D0480062 0002FB7D
	v_add3_u32 v214, v125, v217, 1                             // 000000013144: D1FF00D6 0207B37D
	v_cndmask_b32_e64 v205, v214, v216, s[98:99]               // 00000001314C: D10000CD 018BB1D6
	v_perm_b32 v124, v205, v204, s56                           // 000000013154: D1ED007C 00E399CD
	v_cmp_u_f32_e64 s[98:99], v126, v126                       // 00000001315C: D0480062 0002FD7E
	v_add3_u32 v214, v126, v217, 1                             // 000000013164: D1FF00D6 0207B37E
	v_cndmask_b32_e64 v204, v214, v216, s[98:99]               // 00000001316C: D10000CC 018BB1D6
	v_cmp_u_f32_e64 s[98:99], v127, v127                       // 000000013174: D0480062 0002FF7F
	v_add3_u32 v214, v127, v217, 1                             // 00000001317C: D1FF00D6 0207B37F
	v_cndmask_b32_e64 v205, v214, v216, s[98:99]               // 000000013184: D10000CD 018BB1D6
	v_perm_b32 v125, v205, v204, s56                           // 00000001318C: D1ED007D 00E399CD
	v_cmp_u_f32_e64 s[98:99], v128, v128                       // 000000013194: D0480062 00030180
	v_add3_u32 v214, v128, v217, 1                             // 00000001319C: D1FF00D6 0207B380
	v_cndmask_b32_e64 v204, v214, v216, s[98:99]               // 0000000131A4: D10000CC 018BB1D6
	v_cmp_u_f32_e64 s[98:99], v129, v129                       // 0000000131AC: D0480062 00030381
	v_add3_u32 v214, v129, v217, 1                             // 0000000131B4: D1FF00D6 0207B381
	v_cndmask_b32_e64 v205, v214, v216, s[98:99]               // 0000000131BC: D10000CD 018BB1D6
	v_perm_b32 v126, v205, v204, s56                           // 0000000131C4: D1ED007E 00E399CD
	v_cmp_u_f32_e64 s[98:99], v130, v130                       // 0000000131CC: D0480062 00030582
	v_add3_u32 v214, v130, v217, 1                             // 0000000131D4: D1FF00D6 0207B382
	v_cndmask_b32_e64 v204, v214, v216, s[98:99]               // 0000000131DC: D10000CC 018BB1D6
	v_cmp_u_f32_e64 s[98:99], v131, v131                       // 0000000131E4: D0480062 00030783
	v_add3_u32 v214, v131, v217, 1                             // 0000000131EC: D1FF00D6 0207B383
	v_cndmask_b32_e64 v205, v214, v216, s[98:99]               // 0000000131F4: D10000CD 018BB1D6
	v_perm_b32 v127, v205, v204, s56                           // 0000000131FC: D1ED007F 00E399CD
	v_cmp_u_f32_e64 s[98:99], v132, v132                       // 000000013204: D0480062 00030984
	v_add3_u32 v214, v132, v217, 1                             // 00000001320C: D1FF00D6 0207B384
	v_cndmask_b32_e64 v204, v214, v216, s[98:99]               // 000000013214: D10000CC 018BB1D6
	v_cmp_u_f32_e64 s[98:99], v133, v133                       // 00000001321C: D0480062 00030B85
	v_add3_u32 v214, v133, v217, 1                             // 000000013224: D1FF00D6 0207B385
	v_cndmask_b32_e64 v205, v214, v216, s[98:99]               // 00000001322C: D10000CD 018BB1D6
	v_perm_b32 v128, v205, v204, s56                           // 000000013234: D1ED0080 00E399CD
	v_cmp_u_f32_e64 s[98:99], v134, v134                       // 00000001323C: D0480062 00030D86
	v_add3_u32 v214, v134, v217, 1                             // 000000013244: D1FF00D6 0207B386
	v_cndmask_b32_e64 v204, v214, v216, s[98:99]               // 00000001324C: D10000CC 018BB1D6
	v_cmp_u_f32_e64 s[98:99], v135, v135                       // 000000013254: D0480062 00030F87
	v_add3_u32 v214, v135, v217, 1                             // 00000001325C: D1FF00D6 0207B387
	v_cndmask_b32_e64 v205, v214, v216, s[98:99]               // 000000013264: D10000CD 018BB1D6
	v_perm_b32 v129, v205, v204, s56                           // 00000001326C: D1ED0081 00E399CD
	v_cmp_u_f32_e64 s[98:99], v136, v136                       // 000000013274: D0480062 00031188
	v_add3_u32 v214, v136, v217, 1                             // 00000001327C: D1FF00D6 0207B388
	v_cndmask_b32_e64 v204, v214, v216, s[98:99]               // 000000013284: D10000CC 018BB1D6
	v_cmp_u_f32_e64 s[98:99], v137, v137                       // 00000001328C: D0480062 00031389
	v_add3_u32 v214, v137, v217, 1                             // 000000013294: D1FF00D6 0207B389
	v_cndmask_b32_e64 v205, v214, v216, s[98:99]               // 00000001329C: D10000CD 018BB1D6
	v_perm_b32 v130, v205, v204, s56                           // 0000000132A4: D1ED0082 00E399CD
	v_cmp_u_f32_e64 s[98:99], v138, v138                       // 0000000132AC: D0480062 0003158A
	v_add3_u32 v214, v138, v217, 1                             // 0000000132B4: D1FF00D6 0207B38A
	v_cndmask_b32_e64 v204, v214, v216, s[98:99]               // 0000000132BC: D10000CC 018BB1D6
	v_cmp_u_f32_e64 s[98:99], v139, v139                       // 0000000132C4: D0480062 0003178B
	v_add3_u32 v214, v139, v217, 1                             // 0000000132CC: D1FF00D6 0207B38B
	v_cndmask_b32_e64 v205, v214, v216, s[98:99]               // 0000000132D4: D10000CD 018BB1D6
	v_perm_b32 v131, v205, v204, s56                           // 0000000132DC: D1ED0083 00E399CD
	v_cmp_u_f32_e64 s[98:99], v140, v140                       // 0000000132E4: D0480062 0003198C
	v_add3_u32 v214, v140, v217, 1                             // 0000000132EC: D1FF00D6 0207B38C
	v_cndmask_b32_e64 v204, v214, v216, s[98:99]               // 0000000132F4: D10000CC 018BB1D6
	v_cmp_u_f32_e64 s[98:99], v141, v141                       // 0000000132FC: D0480062 00031B8D
	v_add3_u32 v214, v141, v217, 1                             // 000000013304: D1FF00D6 0207B38D
	v_cndmask_b32_e64 v205, v214, v216, s[98:99]               // 00000001330C: D10000CD 018BB1D6
	v_perm_b32 v132, v205, v204, s56                           // 000000013314: D1ED0084 00E399CD
	v_cmp_u_f32_e64 s[98:99], v142, v142                       // 00000001331C: D0480062 00031D8E
	v_add3_u32 v214, v142, v217, 1                             // 000000013324: D1FF00D6 0207B38E
	v_cndmask_b32_e64 v204, v214, v216, s[98:99]               // 00000001332C: D10000CC 018BB1D6
	v_cmp_u_f32_e64 s[98:99], v143, v143                       // 000000013334: D0480062 00031F8F
	v_add3_u32 v214, v143, v217, 1                             // 00000001333C: D1FF00D6 0207B38F
	v_cndmask_b32_e64 v205, v214, v216, s[98:99]               // 000000013344: D10000CD 018BB1D6
	v_perm_b32 v133, v205, v204, s56                           // 00000001334C: D1ED0085 00E399CD
	v_cmp_u_f32_e64 s[98:99], v144, v144                       // 000000013354: D0480062 00032190
	v_add3_u32 v214, v144, v217, 1                             // 00000001335C: D1FF00D6 0207B390
	v_cndmask_b32_e64 v204, v214, v216, s[98:99]               // 000000013364: D10000CC 018BB1D6
	v_cmp_u_f32_e64 s[98:99], v145, v145                       // 00000001336C: D0480062 00032391
	v_add3_u32 v214, v145, v217, 1                             // 000000013374: D1FF00D6 0207B391
	v_cndmask_b32_e64 v205, v214, v216, s[98:99]               // 00000001337C: D10000CD 018BB1D6
	v_perm_b32 v134, v205, v204, s56                           // 000000013384: D1ED0086 00E399CD
	v_cmp_u_f32_e64 s[98:99], v146, v146                       // 00000001338C: D0480062 00032592
	v_add3_u32 v214, v146, v217, 1                             // 000000013394: D1FF00D6 0207B392
	v_cndmask_b32_e64 v204, v214, v216, s[98:99]               // 00000001339C: D10000CC 018BB1D6
	v_cmp_u_f32_e64 s[98:99], v147, v147                       // 0000000133A4: D0480062 00032793
	v_add3_u32 v214, v147, v217, 1                             // 0000000133AC: D1FF00D6 0207B393
	v_cndmask_b32_e64 v205, v214, v216, s[98:99]               // 0000000133B4: D10000CD 018BB1D6
	v_perm_b32 v135, v205, v204, s56                           // 0000000133BC: D1ED0087 00E399CD
	ds_write_b64 v247, v[124:125] offset:8192                  // 0000000133C4: D89A2000 00007CF7
	ds_write_b64 v247, v[126:127] offset:10496                 // 0000000133CC: D89A2900 00007EF7
	ds_write_b64 v247, v[128:129] offset:12800                 // 0000000133D4: D89A3200 000080F7
	ds_write_b64 v247, v[130:131] offset:15104                 // 0000000133DC: D89A3B00 000082F7
	ds_write_b64 v247, v[132:133] offset:17408                 // 0000000133E4: D89A4400 000084F7
	ds_write_b64 v247, v[134:135] offset:19712                 // 0000000133EC: D89A4D00 000086F7
	s_waitcnt lgkmcnt(0)                                       // 0000000133F4: BF8CC07F
	s_barrier                                                  // 0000000133F8: BF8A0000
	ds_read_b128 v[124:127], v248 offset:8192                  // 0000000133FC: D9FE2000 7C0000F8
	ds_read_b128 v[128:131], v248 offset:12800                 // 000000013404: D9FE3200 800000F8
	ds_read_b128 v[132:135], v248 offset:17408                 // 00000001340C: D9FE4400 840000F8
	s_waitcnt lgkmcnt(2)                                       // 000000013414: BF8CC27F
	buffer_store_dwordx4 v[124:127], v226, s[4:7], 0 offen     // 000000013418: E07C1000 80017CE2
	s_waitcnt lgkmcnt(1)                                       // 000000013420: BF8CC17F
	buffer_store_dwordx4 v[128:131], v227, s[4:7], 0 offen     // 000000013424: E07C1000 800180E3
	s_waitcnt lgkmcnt(0)                                       // 00000001342C: BF8CC07F
	buffer_store_dwordx4 v[132:135], v228, s[4:7], 0 offen     // 000000013430: E07C1000 800184E4
	s_branch label_43BB                                        // 000000013438: BF82002C

000000000001343c <label_438F>:
	v_rcp_f32_e32 v207, 0x3fb8aa3b                             // 00000001343C: 7F9E44FF 3FB8AA3B
	v_log_f32_e32 v204, v176                                   // 000000013444: 7F9843B0
	v_mul_f32_e64 v205, v164, s46                              // 000000013448: D10500CD 00005DA4
	v_add_f32_e32 v211, v204, v205                             // 000000013450: 03A79BCC
	v_mul_f32_e32 v211, v211, v207                             // 000000013454: 0BA79FD3
	buffer_store_dword v211, v237, s[32:35], 0 offen           // 000000013458: E0701000 8008D3ED
	v_log_f32_e32 v204, v177                                   // 000000013460: 7F9843B1
	v_mul_f32_e64 v205, v165, s46                              // 000000013464: D10500CD 00005DA5
	v_add_f32_e32 v212, v204, v205                             // 00000001346C: 03A99BCC
	v_mul_f32_e32 v212, v212, v207                             // 000000013470: 0BA99FD4
	buffer_store_dword v212, v238, s[32:35], 0 offen           // 000000013474: E0701000 8008D4EE
	v_log_f32_e32 v204, v178                                   // 00000001347C: 7F9843B2
	v_mul_f32_e64 v205, v166, s46                              // 000000013480: D10500CD 00005DA6
	v_add_f32_e32 v213, v204, v205                             // 000000013488: 03AB9BCC
	v_mul_f32_e32 v213, v213, v207                             // 00000001348C: 0BAB9FD5
	buffer_store_dword v213, v239, s[32:35], 0 offen           // 000000013490: E0701000 8008D5EF
	v_add_u32_e32 v204, 0, v240                                // 000000013498: 6999E080
	buffer_store_dwordx4 v[124:127], v204, s[28:31], 0 offen   // 00000001349C: E07C1000 80077CCC
	v_add_u32_e32 v204, 0x100, v240                            // 0000000134A4: 6999E0FF 00000100
	buffer_store_dwordx4 v[128:131], v204, s[28:31], 0 offen   // 0000000134AC: E07C1000 800780CC
	v_add_u32_e32 v204, 0, v241                                // 0000000134B4: 6999E280
	buffer_store_dwordx4 v[132:135], v204, s[28:31], 0 offen   // 0000000134B8: E07C1000 800784CC
	v_add_u32_e32 v204, 0x100, v241                            // 0000000134C0: 6999E2FF 00000100
	buffer_store_dwordx4 v[136:139], v204, s[28:31], 0 offen   // 0000000134C8: E07C1000 800788CC
	v_add_u32_e32 v204, 0, v242                                // 0000000134D0: 6999E480
	buffer_store_dwordx4 v[140:143], v204, s[28:31], 0 offen   // 0000000134D4: E07C1000 80078CCC
	v_add_u32_e32 v204, 0x100, v242                            // 0000000134DC: 6999E4FF 00000100
	buffer_store_dwordx4 v[144:147], v204, s[28:31], 0 offen   // 0000000134E4: E07C1000 800790CC

00000000000134ec <label_43BB>:
	s_addk_i32 s80, 0x1                                        // 0000000134EC: B7500001
	s_branch label_0206                                        // 0000000134F0: BF82BE49

00000000000134f4 <label_43BD>:
	s_waitcnt vmcnt(0) expcnt(0) lgkmcnt(0)                    // 0000000134F4: BF8C0000
	s_endpgm                                                   // 0000000134F8: BF810000
